;; amdgpu-corpus repo=ROCm/rocFFT kind=compiled arch=gfx1201 opt=O3
	.text
	.amdgcn_target "amdgcn-amd-amdhsa--gfx1201"
	.amdhsa_code_object_version 6
	.protected	bluestein_single_fwd_len1664_dim1_half_op_CI_CI ; -- Begin function bluestein_single_fwd_len1664_dim1_half_op_CI_CI
	.globl	bluestein_single_fwd_len1664_dim1_half_op_CI_CI
	.p2align	8
	.type	bluestein_single_fwd_len1664_dim1_half_op_CI_CI,@function
bluestein_single_fwd_len1664_dim1_half_op_CI_CI: ; @bluestein_single_fwd_len1664_dim1_half_op_CI_CI
; %bb.0:
	s_load_b128 s[8:11], s[0:1], 0x28
	v_mul_u32_u24_e32 v1, 0x13c, v0
	s_mov_b32 s2, exec_lo
	v_mov_b32_e32 v7, 0
	s_delay_alu instid0(VALU_DEP_2) | instskip(NEXT) | instid1(VALU_DEP_1)
	v_lshrrev_b32_e32 v1, 16, v1
	v_add_nc_u32_e32 v6, ttmp9, v1
	s_wait_kmcnt 0x0
	s_delay_alu instid0(VALU_DEP_1)
	v_cmpx_gt_u64_e64 s[8:9], v[6:7]
	s_cbranch_execz .LBB0_15
; %bb.1:
	v_mul_lo_u16 v1, 0xd0, v1
	s_clause 0x1
	s_load_b64 s[24:25], s[0:1], 0x0
	s_load_b64 s[8:9], s[0:1], 0x38
	s_delay_alu instid0(VALU_DEP_1) | instskip(NEXT) | instid1(VALU_DEP_1)
	v_sub_nc_u16 v0, v0, v1
	v_and_b32_e32 v29, 0xffff, v0
	v_cmp_gt_u16_e32 vcc_lo, 0x80, v0
	s_delay_alu instid0(VALU_DEP_2)
	v_lshlrev_b32_e32 v23, 2, v29
	v_or_b32_e32 v30, 0x80, v29
	v_or_b32_e32 v31, 0x100, v29
	;; [unrolled: 1-line block ×12, first 2 shown]
	s_and_saveexec_b32 s3, vcc_lo
	s_cbranch_execz .LBB0_3
; %bb.2:
	s_load_b64 s[4:5], s[0:1], 0x18
	s_wait_kmcnt 0x0
	s_load_b128 s[4:7], s[4:5], 0x0
	s_clause 0x7
	global_load_b32 v46, v23, s[24:25]
	global_load_b32 v47, v23, s[24:25] offset:512
	global_load_b32 v48, v23, s[24:25] offset:1024
	;; [unrolled: 1-line block ×7, first 2 shown]
	s_wait_kmcnt 0x0
	v_mad_co_u64_u32 v[0:1], null, s6, v6, 0
	v_mad_co_u64_u32 v[2:3], null, s4, v29, 0
	v_mad_co_u64_u32 v[4:5], null, s4, v30, 0
	v_mad_co_u64_u32 v[7:8], null, s4, v31, 0
	v_mad_co_u64_u32 v[9:10], null, s4, v32, 0
	s_delay_alu instid0(VALU_DEP_4)
	v_mad_co_u64_u32 v[33:34], null, s7, v6, v[1:2]
	v_mad_co_u64_u32 v[11:12], null, s4, v28, 0
	v_mad_co_u64_u32 v[34:35], null, s5, v29, v[3:4]
	v_mad_co_u64_u32 v[35:36], null, s5, v30, v[5:6]
	v_mad_co_u64_u32 v[13:14], null, s4, v27, 0
	v_mad_co_u64_u32 v[36:37], null, s5, v31, v[8:9]
	v_mov_b32_e32 v1, v33
	v_mad_co_u64_u32 v[37:38], null, s5, v32, v[10:11]
	v_mad_co_u64_u32 v[15:16], null, s4, v26, 0
	;; [unrolled: 1-line block ×3, first 2 shown]
	v_dual_mov_b32 v8, v36 :: v_dual_mov_b32 v3, v34
	s_delay_alu instid0(VALU_DEP_4)
	v_mov_b32_e32 v10, v37
	v_lshlrev_b64_e32 v[0:1], 2, v[0:1]
	v_mov_b32_e32 v5, v35
	v_mad_co_u64_u32 v[17:18], null, s4, v25, 0
	v_mov_b32_e32 v12, v38
	v_lshlrev_b64_e32 v[2:3], 2, v[2:3]
	v_add_co_u32 v44, s2, s10, v0
	v_mad_co_u64_u32 v[39:40], null, s5, v27, v[14:15]
	v_lshlrev_b64_e32 v[4:5], 2, v[4:5]
	v_add_co_ci_u32_e64 v45, s2, s11, v1, s2
	v_lshlrev_b64_e32 v[7:8], 2, v[7:8]
	v_add_co_u32 v2, s2, v44, v2
	s_wait_alu 0xf1ff
	s_delay_alu instid0(VALU_DEP_3)
	v_add_co_ci_u32_e64 v3, s2, v45, v3, s2
	v_mad_co_u64_u32 v[40:41], null, s5, v26, v[16:17]
	v_lshlrev_b64_e32 v[9:10], 2, v[9:10]
	v_add_co_u32 v4, s2, v44, v4
	v_lshlrev_b64_e32 v[0:1], 2, v[11:12]
	v_mad_co_u64_u32 v[11:12], null, s5, v25, v[18:19]
	v_mad_co_u64_u32 v[33:34], null, s4, v24, 0
	v_mov_b32_e32 v14, v39
	s_wait_alu 0xf1ff
	v_add_co_ci_u32_e64 v5, s2, v45, v5, s2
	v_add_co_u32 v7, s2, v44, v7
	s_wait_alu 0xf1ff
	v_add_co_ci_u32_e64 v8, s2, v45, v8, s2
	v_add_co_u32 v9, s2, v44, v9
	v_lshlrev_b64_e32 v[12:13], 2, v[13:14]
	v_mad_co_u64_u32 v[35:36], null, s4, v22, 0
	s_wait_alu 0xf1ff
	v_add_co_ci_u32_e64 v10, s2, v45, v10, s2
	v_mov_b32_e32 v16, v40
	v_add_co_u32 v0, s2, v44, v0
	v_mov_b32_e32 v18, v11
	s_wait_alu 0xf1ff
	v_add_co_ci_u32_e64 v1, s2, v45, v1, s2
	v_add_co_u32 v11, s2, v44, v12
	v_lshlrev_b64_e32 v[14:15], 2, v[15:16]
	s_wait_alu 0xf1ff
	v_add_co_ci_u32_e64 v12, s2, v45, v13, s2
	v_mov_b32_e32 v13, v34
	v_lshlrev_b64_e32 v[17:18], 2, v[17:18]
	v_mov_b32_e32 v16, v36
	v_mad_co_u64_u32 v[39:40], null, s4, v19, 0
	s_delay_alu instid0(VALU_DEP_4) | instskip(NEXT) | instid1(VALU_DEP_3)
	v_mad_co_u64_u32 v[36:37], null, s5, v24, v[13:14]
	v_mad_co_u64_u32 v[37:38], null, s5, v22, v[16:17]
	v_add_co_u32 v13, s2, v44, v14
	s_wait_alu 0xf1ff
	v_add_co_ci_u32_e64 v14, s2, v45, v15, s2
	v_add_co_u32 v15, s2, v44, v17
	s_wait_alu 0xf1ff
	v_add_co_ci_u32_e64 v16, s2, v45, v18, s2
	v_mad_co_u64_u32 v[17:18], null, s4, v21, 0
	v_mov_b32_e32 v34, v36
	v_mov_b32_e32 v36, v37
	v_mad_co_u64_u32 v[37:38], null, s4, v20, 0
	s_delay_alu instid0(VALU_DEP_3) | instskip(SKIP_1) | instid1(VALU_DEP_4)
	v_lshlrev_b64_e32 v[33:34], 2, v[33:34]
	v_mad_co_u64_u32 v[41:42], null, s5, v21, v[18:19]
	v_lshlrev_b64_e32 v[35:36], 2, v[35:36]
	s_delay_alu instid0(VALU_DEP_4) | instskip(NEXT) | instid1(VALU_DEP_4)
	v_mad_co_u64_u32 v[42:43], null, s5, v20, v[38:39]
	v_add_co_u32 v33, s2, v44, v33
	s_delay_alu instid0(VALU_DEP_4)
	v_mov_b32_e32 v18, v41
	v_mad_co_u64_u32 v[40:41], null, s5, v19, v[40:41]
	s_wait_alu 0xf1ff
	v_add_co_ci_u32_e64 v34, s2, v45, v34, s2
	v_mov_b32_e32 v38, v42
	s_clause 0x4
	global_load_b32 v41, v23, s[24:25] offset:4096
	global_load_b32 v42, v23, s[24:25] offset:4608
	;; [unrolled: 1-line block ×5, first 2 shown]
	s_clause 0x7
	global_load_b32 v56, v[2:3], off
	global_load_b32 v57, v[4:5], off
	;; [unrolled: 1-line block ×8, first 2 shown]
	v_lshlrev_b64_e32 v[0:1], 2, v[17:18]
	v_add_co_u32 v35, s2, v44, v35
	v_lshlrev_b64_e32 v[2:3], 2, v[37:38]
	s_wait_alu 0xf1ff
	v_add_co_ci_u32_e64 v36, s2, v45, v36, s2
	s_delay_alu instid0(VALU_DEP_4)
	v_add_co_u32 v0, s2, v44, v0
	v_lshlrev_b64_e32 v[4:5], 2, v[39:40]
	s_wait_alu 0xf1ff
	v_add_co_ci_u32_e64 v1, s2, v45, v1, s2
	v_add_co_u32 v2, s2, v44, v2
	s_wait_alu 0xf1ff
	v_add_co_ci_u32_e64 v3, s2, v45, v3, s2
	v_add_co_u32 v4, s2, v44, v4
	s_wait_alu 0xf1ff
	v_add_co_ci_u32_e64 v5, s2, v45, v5, s2
	s_clause 0x4
	global_load_b32 v13, v[33:34], off
	global_load_b32 v14, v[35:36], off
	;; [unrolled: 1-line block ×5, first 2 shown]
	s_wait_loadcnt 0x19
	v_lshrrev_b32_e32 v3, 16, v46
	s_wait_loadcnt 0x18
	v_lshrrev_b32_e32 v4, 16, v47
	;; [unrolled: 2-line block ×21, first 2 shown]
	v_mul_f16_e32 v40, v3, v56
	v_mul_f16_e32 v45, v4, v57
	;; [unrolled: 1-line block ×16, first 2 shown]
	v_fma_f16 v39, v46, v39, -v40
	v_fma_f16 v40, v47, v44, -v45
	s_wait_loadcnt 0x4
	v_lshrrev_b32_e32 v70, 16, v13
	s_wait_loadcnt 0x3
	v_lshrrev_b32_e32 v72, 16, v14
	;; [unrolled: 2-line block ×5, first 2 shown]
	v_mul_f16_e32 v71, v34, v13
	v_mul_f16_e32 v73, v35, v14
	;; [unrolled: 1-line block ×10, first 2 shown]
	v_fmac_f16_e32 v3, v46, v56
	v_fmac_f16_e32 v4, v47, v57
	v_fma_f16 v44, v48, v58, -v59
	v_fma_f16 v45, v49, v60, -v61
	v_fmac_f16_e32 v5, v48, v7
	v_fmac_f16_e32 v15, v49, v8
	v_fma_f16 v58, v50, v62, -v63
	v_fma_f16 v59, v51, v64, -v65
	;; [unrolled: 4-line block ×5, first 2 shown]
	v_fma_f16 v66, v55, v78, -v79
	v_fmac_f16_e32 v36, v43, v0
	v_fmac_f16_e32 v37, v54, v1
	;; [unrolled: 1-line block ×3, first 2 shown]
	v_pack_b32_f16 v0, v3, v39
	v_pack_b32_f16 v1, v4, v40
	;; [unrolled: 1-line block ×13, first 2 shown]
	ds_store_2addr_stride64_b32 v23, v0, v1 offset1:2
	ds_store_2addr_stride64_b32 v23, v2, v3 offset0:4 offset1:6
	ds_store_2addr_stride64_b32 v23, v4, v5 offset0:8 offset1:10
	;; [unrolled: 1-line block ×5, first 2 shown]
	ds_store_b32 v23, v13 offset:6144
.LBB0_3:
	s_or_b32 exec_lo, exec_lo, s3
	s_clause 0x1
	s_load_b64 s[2:3], s[0:1], 0x20
	s_load_b64 s[0:1], s[0:1], 0x8
	v_mov_b32_e32 v4, 0
	global_wb scope:SCOPE_SE
	s_wait_dscnt 0x0
	s_wait_kmcnt 0x0
	s_barrier_signal -1
	s_barrier_wait -1
	global_inv scope:SCOPE_SE
                                        ; implicit-def: $vgpr17
                                        ; implicit-def: $vgpr1
                                        ; implicit-def: $vgpr3
                                        ; implicit-def: $vgpr12
                                        ; implicit-def: $vgpr14
                                        ; implicit-def: $vgpr16
                                        ; kill: def $vgpr0 killed $sgpr0 killed $exec
	s_and_saveexec_b32 s4, vcc_lo
	s_cbranch_execz .LBB0_5
; %bb.4:
	ds_load_2addr_stride64_b32 v[4:5], v23 offset1:2
	ds_load_2addr_stride64_b32 v[15:16], v23 offset0:4 offset1:6
	ds_load_2addr_stride64_b32 v[13:14], v23 offset0:8 offset1:10
	ds_load_2addr_stride64_b32 v[11:12], v23 offset0:12 offset1:14
	ds_load_2addr_stride64_b32 v[2:3], v23 offset0:16 offset1:18
	ds_load_2addr_stride64_b32 v[0:1], v23 offset0:20 offset1:22
	ds_load_b32 v17, v23 offset:6144
.LBB0_5:
	s_wait_alu 0xfffe
	s_or_b32 exec_lo, exec_lo, s4
	s_wait_dscnt 0x0
	v_pk_add_f16 v33, v5, v17 neg_lo:[0,1] neg_hi:[0,1]
	v_pk_add_f16 v18, v17, v5
	v_pk_add_f16 v42, v15, v1 neg_lo:[0,1] neg_hi:[0,1]
	v_pk_add_f16 v41, v1, v15
	v_lshrrev_b32_e32 v47, 16, v4
	v_lshrrev_b32_e32 v7, 16, v33
	;; [unrolled: 1-line block ×3, first 2 shown]
	v_mul_f16_e32 v52, 0xba95, v33
	v_lshrrev_b32_e32 v38, 16, v42
	v_mul_f16_e32 v57, 0xbbf1, v33
	v_mul_f16_e32 v44, 0xb770, v7
	v_lshrrev_b32_e32 v80, 16, v41
	v_fma_f16 v8, v81, 0x388b, -v52
	v_mul_f16_e32 v48, 0xba95, v38
	v_mul_f16_e32 v58, 0xbb7b, v42
	v_fmamk_f16 v9, v18, 0x3b15, v44
	v_mul_f16_e32 v53, 0xbbf1, v7
	v_mul_f16_e32 v62, 0xbb7b, v7
	v_fma_f16 v35, v81, 0x2fb7, -v57
	v_add_f16_e32 v8, v8, v47
	v_add_f16_e32 v9, v9, v4
	v_fmamk_f16 v40, v41, 0x388b, v48
	v_fma_f16 v45, v80, 0xb5ac, -v58
	v_mul_f16_e32 v64, 0xb3a8, v42
	v_mul_f16_e32 v68, 0xbb7b, v33
	v_fmamk_f16 v10, v18, 0x2fb7, v53
	v_fmamk_f16 v36, v18, 0xb5ac, v62
	v_add_f16_e32 v35, v35, v47
	v_mul_f16_e32 v60, 0xb3a8, v38
	v_add_f16_e32 v9, v40, v9
	v_add_f16_e32 v8, v45, v8
	v_fma_f16 v40, v80, 0xbbc4, -v64
	v_pk_add_f16 v45, v16, v0 neg_lo:[0,1] neg_hi:[0,1]
	v_add_f16_e32 v10, v10, v4
	v_mul_f16_e32 v73, 0xb94e, v7
	v_add_f16_e32 v7, v36, v4
	v_fma_f16 v36, v81, 0xb5ac, -v68
	v_fmamk_f16 v46, v41, 0xbbc4, v60
	v_mul_f16_e32 v75, 0x394e, v42
	v_add_f16_e32 v35, v40, v35
	v_lshrrev_b32_e32 v40, 16, v45
	v_add_f16_e32 v36, v36, v47
	v_add_f16_e32 v10, v46, v10
	v_fma_f16 v49, v80, 0xb9fd, -v75
	v_pk_add_f16 v46, v0, v16
	v_mul_f16_e32 v56, 0xbbf1, v40
	v_fmamk_f16 v37, v18, 0xb9fd, v73
	v_mul_f16_e32 v84, 0x3bf1, v38
	v_add_f16_e32 v36, v49, v36
	v_lshrrev_b32_e32 v85, 16, v46
	v_fmamk_f16 v49, v46, 0x2fb7, v56
	v_mul_f16_e32 v65, 0xb3a8, v45
	v_add_f16_e32 v37, v37, v4
	v_mul_f16_e32 v71, 0x394e, v38
	v_fmamk_f16 v50, v41, 0x2fb7, v84
	v_mul_f16_e32 v69, 0x3b7b, v40
	v_add_f16_e32 v9, v49, v9
	v_fma_f16 v49, v85, 0xbbc4, -v65
	v_mul_f16_e32 v79, 0xb94e, v33
	v_fmamk_f16 v38, v41, 0xb9fd, v71
	v_add_f16_e32 v37, v50, v37
	v_fmamk_f16 v50, v46, 0xb5ac, v69
	v_mul_f16_e32 v72, 0x3b7b, v45
	v_mul_f16_e32 v76, 0x3770, v40
	v_add_f16_e32 v8, v49, v8
	v_pk_add_f16 v49, v13, v3 neg_lo:[0,1] neg_hi:[0,1]
	v_fma_f16 v39, v81, 0xb9fd, -v79
	v_mul_f16_e32 v87, 0x3bf1, v42
	v_add_f16_e32 v7, v38, v7
	v_add_f16_e32 v10, v50, v10
	v_fma_f16 v50, v85, 0xb5ac, -v72
	v_fmamk_f16 v54, v46, 0x3b15, v76
	v_mul_f16_e32 v82, 0x3770, v45
	v_mul_f16_e32 v89, 0xba95, v40
	v_lshrrev_b32_e32 v63, 16, v49
	v_pk_mul_f16 v34, 0x3b15388b, v18
	v_add_f16_e32 v39, v39, v47
	v_fma_f16 v38, v80, 0x2fb7, -v87
	v_add_f16_e32 v35, v50, v35
	v_add_f16_e32 v7, v54, v7
	v_fma_f16 v40, v85, 0x3b15, -v82
	v_fmamk_f16 v54, v46, 0x388b, v89
	v_mul_f16_e32 v94, 0xba95, v45
	v_pk_add_f16 v50, v3, v13
	v_mul_f16_e32 v61, 0xbb7b, v63
	v_pk_fma_f16 v43, 0xba95b770, v33, v34 op_sel:[0,0,1] op_sel_hi:[1,1,0]
	v_pk_mul_f16 v97, 0x388bb5ac, v41
	v_add_f16_e32 v38, v38, v39
	v_add_f16_e32 v36, v40, v36
	;; [unrolled: 1-line block ×3, first 2 shown]
	v_fma_f16 v40, v85, 0x388b, -v94
	v_lshrrev_b32_e32 v91, 16, v50
	v_mul_f16_e32 v70, 0x394e, v49
	v_mul_f16_e32 v74, 0x3770, v63
	v_fmamk_f16 v54, v50, 0xb5ac, v61
	v_pk_add_f16 v55, v14, v2 neg_lo:[0,1] neg_hi:[0,1]
	v_pk_fma_f16 v51, 0xbb7bba95, v42, v97 op_sel:[0,0,1] op_sel_hi:[1,1,0]
	v_pk_mul_f16 v39, 0x2fb7bbc4, v46
	v_add_f16_e32 v38, v40, v38
	v_fma_f16 v40, v91, 0xb9fd, -v70
	v_fmamk_f16 v67, v50, 0x3b15, v74
	v_add_f16_e32 v93, v54, v9
	v_mul_f16_e32 v88, 0xbbf1, v63
	v_mul_f16_e32 v98, 0x33a8, v63
	v_lshrrev_b32_e32 v90, 16, v55
	v_lshrrev_b32_e32 v9, 16, v43
	v_pk_fma_f16 v59, 0xb3a8bbf1, v45, v39 op_sel:[0,0,1] op_sel_hi:[1,1,0]
	v_pk_mul_f16 v101, 0xb5acb9fd, v50
	v_add_f16_e32 v40, v40, v8
	v_add_f16_e32 v8, v67, v10
	v_pk_add_f16 v54, v2, v14
	v_fmamk_f16 v10, v50, 0x2fb7, v88
	v_fmamk_f16 v63, v50, 0xbbc4, v98
	v_mul_f16_e32 v83, 0xba95, v90
	v_add_f16_e32 v9, v9, v4
	v_lshrrev_b32_e32 v67, 16, v51
	v_pk_fma_f16 v66, 0x394ebb7b, v49, v101 op_sel:[0,0,1] op_sel_hi:[1,1,0]
	v_pk_mul_f16 v104, 0xb9fd2fb7, v54
	v_add_f16_e32 v7, v10, v7
	v_fmamk_f16 v10, v54, 0x388b, v83
	v_add_f16_e32 v37, v63, v37
	v_add_f16_e32 v9, v67, v9
	v_lshrrev_b32_e32 v78, 16, v59
	v_pk_add_f16 v63, v12, v11
	v_pk_fma_f16 v77, 0x3bf1b94e, v55, v104 op_sel:[0,0,1] op_sel_hi:[1,1,0]
	v_add_f16_e32 v10, v10, v8
	v_pk_add_f16 v67, v11, v12 neg_lo:[0,1] neg_hi:[0,1]
	v_add_f16_e32 v8, v78, v9
	v_lshrrev_b32_e32 v9, 16, v66
	v_pk_mul_f16 v118, 0xbbc43b15, v63
	v_mul_f16_e32 v95, 0x33a8, v90
	v_lshrrev_b32_e32 v100, 16, v67
	v_mul_f16_e32 v109, 0x3770, v90
	v_add_f16_e32 v8, v9, v8
	v_lshrrev_b32_e32 v9, 16, v77
	v_pk_fma_f16 v78, 0x3770b3a8, v67, v118 op_sel:[0,0,1] op_sel_hi:[1,1,0]
	v_fmamk_f16 v92, v54, 0xbbc4, v95
	v_mul_f16_e32 v86, 0xb94e, v100
	v_mul_f16_e32 v103, 0x3a95, v100
	v_add_f16_e32 v8, v9, v8
	v_lshrrev_b32_e32 v9, 16, v78
	v_add_f16_e32 v92, v92, v7
	v_fmamk_f16 v7, v54, 0x3b15, v109
	v_fmamk_f16 v96, v63, 0xb9fd, v86
	v_mul_f16_e32 v108, 0xbb7b, v100
	v_add_f16_e32 v8, v9, v8
	v_fmamk_f16 v9, v63, 0x388b, v103
	v_add_f16_e32 v37, v7, v37
	v_mul_f16_e32 v110, 0xbbf1, v49
	v_fmamk_f16 v102, v63, 0xb5ac, v108
	v_add_f16_e32 v7, v96, v10
	v_add_f16_e32 v10, v9, v92
	v_mul_f16_e32 v90, 0xb94e, v90
	v_lshrrev_b32_e32 v112, 16, v54
	v_mul_f16_e32 v92, 0x3bf1, v55
	v_mul_f16_e32 v99, 0x3770, v49
	v_add_f16_e32 v9, v102, v37
	v_fma_f16 v37, v91, 0x2fb7, -v110
	v_mul_f16_e32 v115, 0x33a8, v49
	v_fmamk_f16 v96, v54, 0xb9fd, v90
	v_fma_f16 v102, v112, 0x2fb7, -v92
	v_mul_f16_e32 v111, 0x33a8, v55
	v_fma_f16 v105, v91, 0x3b15, -v99
	v_add_f16_e32 v36, v37, v36
	v_fma_f16 v37, v91, 0xbbc4, -v115
	v_mul_f16_e32 v106, 0xba95, v55
	v_add_f16_e32 v107, v96, v93
	v_add_f16_e32 v40, v102, v40
	v_fma_f16 v102, v112, 0xbbc4, -v111
	v_pk_fma_f16 v96, 0xba95b770, v33, v34 op_sel:[0,0,1] op_sel_hi:[1,1,0] neg_lo:[0,1,0] neg_hi:[0,1,0]
	v_add_f16_e32 v35, v105, v35
	v_add_f16_e32 v37, v37, v38
	v_fma_f16 v38, v112, 0x388b, -v106
	v_mul_f16_e32 v116, 0x3770, v55
	v_mul_f16_e32 v93, 0xb3a8, v100
	v_add_f16_e32 v34, v102, v36
	v_pk_fma_f16 v97, 0xbb7bba95, v42, v97 op_sel:[0,0,1] op_sel_hi:[1,1,0] neg_lo:[0,1,0] neg_hi:[0,1,0]
	v_add_f16_e32 v36, v96, v47
	v_add_f16_e32 v38, v38, v35
	v_fma_f16 v35, v112, 0x3b15, -v116
	v_fmamk_f16 v102, v63, 0xbbc4, v93
	v_pk_fma_f16 v100, 0xb3a8bbf1, v45, v39 op_sel:[0,0,1] op_sel_hi:[1,1,0] neg_lo:[0,1,0] neg_hi:[0,1,0]
	v_add_f16_e32 v36, v97, v36
	v_lshrrev_b32_e32 v114, 16, v63
	v_add_f16_e32 v119, v35, v37
	v_add_f16_e32 v35, v102, v107
	v_pk_fma_f16 v102, 0x394ebb7b, v49, v101 op_sel:[0,0,1] op_sel_hi:[1,1,0] neg_lo:[0,1,0] neg_hi:[0,1,0]
	v_add_f16_e32 v36, v100, v36
	v_mul_f16_e32 v105, 0x3770, v67
	v_mul_f16_e32 v107, 0xb94e, v67
	;; [unrolled: 1-line block ×4, first 2 shown]
	v_pk_fma_f16 v104, 0x3bf1b94e, v55, v104 op_sel:[0,0,1] op_sel_hi:[1,1,0] neg_lo:[0,1,0] neg_hi:[0,1,0]
	v_add_f16_e32 v36, v102, v36
	v_fma_f16 v37, v114, 0x3b15, -v105
	v_fma_f16 v39, v114, 0xb9fd, -v107
	;; [unrolled: 1-line block ×4, first 2 shown]
	v_pk_fma_f16 v101, 0x3770b3a8, v67, v118 op_sel:[0,0,1] op_sel_hi:[1,1,0] neg_lo:[0,1,0] neg_hi:[0,1,0]
	v_add_f16_e32 v36, v104, v36
	v_add_f16_e32 v37, v37, v40
	;; [unrolled: 1-line block ×6, first 2 shown]
	v_mul_lo_u16 v34, v29, 13
	global_wb scope:SCOPE_SE
	s_barrier_signal -1
	s_barrier_wait -1
	global_inv scope:SCOPE_SE
	s_and_saveexec_b32 s4, vcc_lo
	s_cbranch_execz .LBB0_7
; %bb.6:
	v_mul_f16_e32 v122, 0xb9fd, v81
	v_mul_f16_e32 v125, 0xb9fd, v18
	v_alignbit_b32 v118, v4, v4, 16
	v_mul_f16_e32 v120, 0x388b, v81
	v_mul_f16_e32 v123, 0x2fb7, v81
	v_add_f16_e32 v79, v79, v122
	v_mul_f16_e32 v122, 0x2fb7, v80
	v_sub_f16_e32 v73, v125, v73
	v_mul_f16_e32 v81, 0xb5ac, v81
	v_mul_f16_e32 v127, 0xb5ac, v80
	v_add_f16_e32 v79, v79, v47
	v_add_f16_e32 v87, v87, v122
	v_mul_f16_e32 v122, 0x388b, v85
	v_add_f16_e32 v73, v73, v4
	v_add_f16_e32 v68, v68, v81
	;; [unrolled: 1-line block ×5, first 2 shown]
	v_mul_f16_e32 v94, 0x2fb7, v41
	v_mul_f16_e32 v122, 0xbbc4, v91
	v_add_f16_e32 v52, v52, v120
	v_pk_add_f16 v5, v5, v118 op_sel:[0,1] op_sel_hi:[1,0]
	v_add_f16_e32 v79, v87, v79
	v_sub_f16_e32 v84, v94, v84
	v_add_f16_e32 v115, v115, v122
	v_mul_f16_e32 v122, 0x388b, v46
	v_mul_f16_e32 v87, 0xbbc4, v85
	v_add_f16_e32 v68, v68, v47
	v_add_f16_e32 v73, v84, v73
	;; [unrolled: 1-line block ×3, first 2 shown]
	v_mul_f16_e32 v115, 0x3b15, v112
	v_sub_f16_e32 v89, v122, v89
	v_add_f16_e32 v57, v57, v47
	v_add_f16_e32 v47, v52, v47
	;; [unrolled: 1-line block ×5, first 2 shown]
	v_mul_f16_e32 v89, 0xb5ac, v114
	v_pk_add_f16 v5, v15, v5
	v_add_f16_e32 v47, v52, v47
	v_add_f16_e32 v79, v115, v79
	;; [unrolled: 1-line block ×4, first 2 shown]
	v_mul_f16_e32 v117, 0xb9fd, v91
	v_pk_add_f16 v5, v16, v5
	v_mul_f16_e64 v130, 0xb9fd, v41
	v_add_f16_e32 v47, v52, v47
	v_add_f16_e32 v79, v89, v79
	v_mul_f16_e32 v89, 0x2fb7, v112
	v_add_f16_e32 v52, v70, v117
	v_pk_add_f16 v5, v13, v5
	v_mul_f16_e32 v119, 0x3b15, v18
	v_mul_f16_e32 v121, 0x2fb7, v18
	;; [unrolled: 1-line block ×3, first 2 shown]
	v_sub_f16_e64 v71, v130, v71
	v_mul_f16_e64 v130, 0x3b15, v114
	v_add_f16_e32 v47, v52, v47
	v_add_f16_e32 v16, v92, v89
	v_pk_add_f16 v5, v14, v5
	v_mul_f16_e32 v126, 0x388b, v41
	v_sub_f16_e32 v62, v124, v62
	v_sub_f16_e32 v53, v121, v53
	;; [unrolled: 1-line block ×3, first 2 shown]
	v_add_f16_e32 v13, v16, v47
	v_add_f16_e64 v16, v105, v130
	v_pk_add_f16 v5, v11, v5
	v_mul_f16_e32 v125, 0x2fb7, v46
	v_add_f16_e32 v62, v62, v4
	v_add_f16_e32 v53, v53, v4
	;; [unrolled: 1-line block ×3, first 2 shown]
	v_sub_f16_e32 v44, v126, v48
	v_add_f16_e32 v13, v16, v13
	v_bfi_b32 v16, 0xffff, v43, v96
	v_pk_add_f16 v5, v12, v5
	v_bfi_b32 v43, 0xffff, v51, v97
	v_add_f16_e32 v4, v44, v4
	v_sub_f16_e32 v44, v125, v56
	v_mul_f16_e64 v129, 0xbbc4, v80
	v_pk_add_f16 v2, v2, v5
	v_pk_add_f16 v5, v16, v118
	v_mul_f16_e64 v128, 0xbbc4, v41
	v_add_f16_e32 v4, v44, v4
	v_bfi_b32 v44, 0xffff, v59, v100
	v_pk_add_f16 v2, v3, v2
	v_pk_add_f16 v3, v43, v5
	v_pk_mul_f16 v5, 0xb3a8, v33 op_sel_hi:[0,1]
	v_mul_f16_e32 v80, 0xb9fd, v80
	v_mul_f16_e32 v84, 0xb5ac, v85
	;; [unrolled: 1-line block ×4, first 2 shown]
	v_add_f16_e64 v64, v64, v129
	v_bfi_b32 v12, 0xffff, v66, v102
	v_pk_add_f16 v0, v0, v2
	v_pk_add_f16 v2, v44, v3
	v_pk_fma_f16 v3, 0xbbc4, v18, v5 op_sel:[0,0,1] op_sel_hi:[0,1,0] neg_lo:[0,0,1] neg_hi:[0,0,1]
	v_pk_fma_f16 v5, 0xbbc4, v18, v5 op_sel:[0,0,1] op_sel_hi:[0,1,0]
	v_pk_mul_f16 v18, 0x3770, v42 op_sel_hi:[0,1]
	v_mul_f16_e32 v94, 0xb5ac, v46
	v_mul_f16_e32 v116, 0x3b15, v46
	;; [unrolled: 1-line block ×3, first 2 shown]
	v_sub_f16_e32 v98, v122, v98
	v_sub_f16_e32 v109, v115, v109
	v_mul_f16_e32 v115, 0x3b15, v91
	v_add_f16_e32 v75, v75, v80
	v_add_f16_e32 v57, v64, v57
	;; [unrolled: 1-line block ×3, first 2 shown]
	v_sub_f16_e64 v60, v128, v60
	v_mul_f16_e32 v122, 0xb5ac, v50
	v_bfi_b32 v47, 0xffff, v77, v104
	v_pk_add_f16 v0, v1, v0
	v_pk_add_f16 v1, v12, v2
	v_bfi_b32 v2, 0xffff, v3, v5
	v_pk_fma_f16 v12, 0x3b15, v41, v18 op_sel:[0,0,1] op_sel_hi:[0,1,0] neg_lo:[0,0,1] neg_hi:[0,0,1]
	v_pk_fma_f16 v18, 0x3b15, v41, v18 op_sel:[0,0,1] op_sel_hi:[0,1,0]
	v_pk_mul_f16 v33, 0xb94e, v45 op_sel_hi:[0,1]
	v_bfi_b32 v3, 0xffff, v5, v3
	v_add_f16_e32 v73, v98, v73
	v_mul_f16_e32 v98, 0x3b15, v50
	v_mul_f16_e32 v81, 0x2fb7, v50
	;; [unrolled: 1-line block ×3, first 2 shown]
	v_add_f16_e32 v68, v75, v68
	v_mul_f16_e32 v75, 0x388b, v112
	v_add_f16_e32 v82, v82, v85
	v_add_f16_e32 v62, v71, v62
	v_sub_f16_e32 v76, v116, v76
	v_add_f16_e32 v57, v64, v57
	v_add_f16_e32 v64, v99, v115
	;; [unrolled: 1-line block ×3, first 2 shown]
	v_sub_f16_e32 v60, v94, v69
	v_mul_f16_e32 v80, 0xb9fd, v54
	v_sub_f16_e32 v11, v122, v61
	v_bfi_b32 v16, 0xffff, v78, v101
	v_pk_add_f16 v0, v17, v0
	v_pk_add_f16 v1, v47, v1
	v_pk_add_f16 v2, v2, v118 op_sel:[0,1] op_sel_hi:[1,0]
	v_bfi_b32 v17, 0xffff, v12, v18
	v_pk_fma_f16 v41, 0xb9fd, v46, v33 op_sel:[0,0,1] op_sel_hi:[0,1,0] neg_lo:[0,0,1] neg_hi:[0,0,1]
	v_pk_fma_f16 v33, 0xb9fd, v46, v33 op_sel:[0,0,1] op_sel_hi:[0,1,0]
	v_pk_mul_f16 v5, 0x3a95, v49 op_sel_hi:[0,1]
	v_pk_add_f16 v3, v3, v118 op_sel:[0,1] op_sel_hi:[1,0]
	v_bfi_b32 v12, 0xffff, v18, v12
	v_add_f16_e32 v73, v109, v73
	v_mul_f16_e32 v109, 0x388b, v54
	v_mul_f16_e32 v124, 0xbbc4, v54
	;; [unrolled: 1-line block ×3, first 2 shown]
	v_add_f16_e32 v68, v82, v68
	v_add_f16_e32 v91, v110, v91
	;; [unrolled: 1-line block ×3, first 2 shown]
	v_sub_f16_e32 v76, v81, v88
	v_add_f16_e32 v57, v64, v57
	v_add_f16_e32 v58, v106, v75
	;; [unrolled: 1-line block ×3, first 2 shown]
	v_sub_f16_e32 v60, v98, v74
	v_mul_f16_e32 v85, 0xbbc4, v63
	v_add_f16_e32 v4, v11, v4
	v_sub_f16_e32 v11, v80, v90
	v_pk_add_f16 v1, v16, v1
	v_pk_add_f16 v2, v17, v2
	v_bfi_b32 v16, 0xffff, v41, v33
	v_pk_fma_f16 v17, 0x388b, v50, v5 op_sel:[0,0,1] op_sel_hi:[0,1,0] neg_lo:[0,0,1] neg_hi:[0,0,1]
	v_pk_fma_f16 v5, 0x388b, v50, v5 op_sel:[0,0,1] op_sel_hi:[0,1,0]
	v_pk_mul_f16 v18, 0xbb7b, v55 op_sel_hi:[0,1]
	v_pk_add_f16 v3, v12, v3
	v_bfi_b32 v12, 0xffff, v33, v41
	v_mul_f16_e32 v82, 0xb9fd, v63
	v_mul_f16_e32 v71, 0xb9fd, v114
	v_mul_f16_e32 v116, 0x388b, v63
	v_mul_f16_e32 v114, 0x388b, v114
	v_add_f16_e32 v68, v91, v68
	v_add_f16_e32 v91, v111, v112
	;; [unrolled: 1-line block ×3, first 2 shown]
	v_sub_f16_e32 v76, v124, v95
	v_add_f16_e32 v57, v58, v57
	v_add_f16_e32 v53, v60, v53
	v_sub_f16_e32 v58, v109, v83
	v_mul_f16_e32 v110, 0xb5ac, v63
	v_add_f16_e32 v4, v11, v4
	v_sub_f16_e32 v11, v85, v93
	v_pk_add_f16 v2, v16, v2
	v_bfi_b32 v16, 0xffff, v17, v5
	v_pk_fma_f16 v33, 0xb5ac, v54, v18 op_sel:[0,0,1] op_sel_hi:[0,1,0] neg_lo:[0,0,1] neg_hi:[0,0,1]
	v_pk_fma_f16 v18, 0xb5ac, v54, v18 op_sel:[0,0,1] op_sel_hi:[0,1,0]
	v_pk_mul_f16 v41, 0x3bf1, v67 op_sel_hi:[0,1]
	v_pk_add_f16 v3, v12, v3
	v_bfi_b32 v5, 0xffff, v5, v17
	v_add_f16_e32 v68, v91, v68
	v_add_f16_e32 v81, v113, v114
	;; [unrolled: 1-line block ×3, first 2 shown]
	v_sub_f16_e32 v76, v116, v103
	v_add_f16_e32 v15, v107, v71
	v_add_f16_e32 v53, v58, v53
	v_sub_f16_e32 v48, v82, v86
	v_sub_f16_e32 v108, v110, v108
	v_add_f16_e32 v4, v11, v4
	v_pk_add_f16 v2, v16, v2
	v_bfi_b32 v12, 0xffff, v33, v18
	v_pk_fma_f16 v16, 0x2fb7, v63, v41 op_sel:[0,0,1] op_sel_hi:[0,1,0] neg_lo:[0,0,1] neg_hi:[0,0,1]
	v_pk_fma_f16 v17, 0x2fb7, v63, v41 op_sel:[0,0,1] op_sel_hi:[0,1,0]
	v_pk_add_f16 v3, v5, v3
	v_bfi_b32 v5, 0xffff, v18, v33
	v_and_b32_e32 v11, 0xffff, v34
	v_add_f16_e32 v68, v81, v68
	v_add_f16_e32 v62, v76, v62
	;; [unrolled: 1-line block ×5, first 2 shown]
	v_alignbit_b32 v13, v13, v1, 16
	v_pack_b32_f16 v1, v4, v1
	v_pk_add_f16 v2, v12, v2
	v_bfi_b32 v4, 0xffff, v16, v17
	v_pk_add_f16 v3, v5, v3
	v_bfi_b32 v5, 0xffff, v17, v16
	v_lshlrev_b32_e32 v11, 2, v11
	v_pack_b32_f16 v12, v62, v68
	v_pack_b32_f16 v14, v15, v14
	v_pk_add_f16 v2, v4, v2
	v_pack_b32_f16 v4, v73, v79
	v_pk_add_f16 v3, v5, v3
	v_perm_b32 v5, v40, v9, 0x5040100
	v_perm_b32 v15, v38, v7, 0x5040100
	;; [unrolled: 1-line block ×5, first 2 shown]
	ds_store_b32 v11, v0
	ds_store_2addr_b32 v11, v1, v13 offset0:1 offset1:2
	ds_store_2addr_b32 v11, v14, v12 offset0:3 offset1:4
	;; [unrolled: 1-line block ×6, first 2 shown]
.LBB0_7:
	s_wait_alu 0xfffe
	s_or_b32 exec_lo, exec_lo, s4
	v_and_b32_e32 v0, 0xff, v29
	v_add_co_u32 v17, null, 0xd0, v29
	v_add_nc_u32_e32 v11, 0x1a0, v29
	v_add_nc_u32_e32 v12, 0x270, v29
	s_delay_alu instid0(VALU_DEP_4) | instskip(NEXT) | instid1(VALU_DEP_4)
	v_mul_lo_u16 v18, 0x4f, v0
	v_and_b32_e32 v0, 0xffff, v17
	s_load_b128 s[20:23], s[2:3], 0x0
	v_and_b32_e32 v1, 0xffff, v11
	v_and_b32_e32 v2, 0xffff, v12
	v_lshrrev_b16 v45, 10, v18
	v_mul_u32_u24_e32 v56, 0x4ec5, v0
	global_wb scope:SCOPE_SE
	s_wait_dscnt 0x0
	v_mul_u32_u24_e32 v14, 0x4ec5, v1
	v_mul_u32_u24_e32 v13, 0x4ec5, v2
	v_mul_lo_u16 v0, v45, 13
	v_lshrrev_b32_e32 v46, 18, v56
	s_wait_kmcnt 0x0
	s_barrier_signal -1
	v_lshrrev_b32_e32 v47, 18, v14
	v_lshrrev_b32_e32 v48, 18, v13
	v_sub_nc_u16 v0, v29, v0
	v_mul_lo_u16 v1, v46, 13
	s_barrier_wait -1
	v_mul_lo_u16 v2, v47, 13
	v_mul_lo_u16 v3, v48, 13
	v_and_b32_e32 v49, 0xff, v0
	v_sub_nc_u16 v50, v17, v1
	global_inv scope:SCOPE_SE
	v_sub_nc_u16 v51, v11, v2
	v_sub_nc_u16 v52, v12, v3
	v_lshlrev_b32_e32 v0, 2, v49
	v_and_b32_e32 v1, 0xffff, v50
	v_lshrrev_b16 v58, 11, v18
	v_and_b32_e32 v2, 0xffff, v51
	v_and_b32_e32 v3, 0xffff, v52
	global_load_b32 v41, v0, s[0:1]
	v_lshlrev_b32_e32 v0, 2, v1
	v_lshrrev_b32_e32 v60, 19, v56
	v_lshlrev_b32_e32 v1, 2, v2
	v_lshlrev_b32_e32 v2, 2, v3
	s_clause 0x2
	global_load_b32 v42, v0, s[0:1]
	global_load_b32 v43, v1, s[0:1]
	;; [unrolled: 1-line block ×3, first 2 shown]
	v_and_b32_e32 v0, 0xffff, v29
	v_lshrrev_b32_e32 v61, 19, v14
	v_mul_lo_u16 v53, v58, 26
	v_lshrrev_b32_e32 v62, 19, v13
	v_and_b32_e32 v45, 0xffff, v45
	v_lshlrev_b32_e32 v33, 2, v0
	v_mul_lo_u16 v54, v60, 26
	v_mul_lo_u16 v55, v61, 26
	v_sub_nc_u16 v53, v29, v53
	v_mul_lo_u16 v57, v62, 26
	v_add_nc_u32_e32 v95, 0xd00, v33
	v_add_nc_u32_e32 v94, 0x600, v33
	;; [unrolled: 1-line block ×3, first 2 shown]
	ds_load_2addr_b32 v[0:1], v33 offset1:208
	ds_load_2addr_b32 v[2:3], v95 offset1:208
	ds_load_2addr_b32 v[4:5], v94 offset0:32 offset1:240
	ds_load_2addr_b32 v[15:16], v96 offset0:32 offset1:240
	v_mad_u16 v46, v46, 26, v50
	v_mul_u32_u24_e32 v45, 26, v45
	v_sub_nc_u16 v63, v17, v54
	v_sub_nc_u16 v64, v11, v55
	v_mad_u16 v48, v48, 26, v52
	v_mad_u16 v47, v47, 26, v51
	v_and_b32_e32 v59, 0xff, v53
	v_sub_nc_u16 v65, v12, v57
	v_and_b32_e32 v46, 0xffff, v46
	v_add_lshl_u32 v45, v45, v49, 2
	v_and_b32_e32 v49, 0xffff, v63
	v_and_b32_e32 v51, 0xffff, v64
	;; [unrolled: 1-line block ×5, first 2 shown]
	v_lshlrev_b32_e32 v47, 2, v46
	v_lshlrev_b32_e32 v74, 2, v49
	s_wait_dscnt 0x2
	v_lshrrev_b32_e32 v68, 16, v2
	v_lshrrev_b32_e32 v69, 16, v3
	s_wait_dscnt 0x0
	v_lshrrev_b32_e32 v71, 16, v15
	v_lshlrev_b32_e32 v75, 2, v51
	v_lshlrev_b32_e32 v49, 2, v55
	v_lshrrev_b32_e32 v73, 16, v16
	v_lshlrev_b32_e32 v48, 2, v54
	v_lshlrev_b32_e32 v76, 2, v52
	v_lshrrev_b32_e32 v66, 16, v0
	v_lshrrev_b32_e32 v67, 16, v1
	;; [unrolled: 1-line block ×4, first 2 shown]
	v_lshlrev_b32_e32 v50, 2, v59
	global_wb scope:SCOPE_SE
	s_wait_loadcnt 0x0
	s_barrier_signal -1
	s_barrier_wait -1
	global_inv scope:SCOPE_SE
	v_lshrrev_b32_e32 v56, 20, v56
	v_lshrrev_b32_e32 v14, 22, v14
	;; [unrolled: 1-line block ×5, first 2 shown]
	s_delay_alu instid0(VALU_DEP_2)
	v_mul_f16_e32 v46, v68, v53
	v_mul_f16_e32 v51, v2, v53
	v_lshrrev_b32_e32 v55, 16, v43
	v_lshrrev_b32_e32 v54, 16, v44
	v_mul_f16_e32 v52, v3, v57
	v_fma_f16 v2, v2, v41, -v46
	v_mul_f16_e32 v46, v69, v57
	v_fmac_f16_e32 v51, v68, v41
	v_mul_f16_e32 v68, v71, v55
	v_mul_f16_e32 v77, v15, v55
	;; [unrolled: 1-line block ×4, first 2 shown]
	v_fma_f16 v3, v3, v42, -v46
	v_fmac_f16_e32 v52, v69, v42
	v_fma_f16 v15, v15, v43, -v68
	v_sub_f16_e32 v46, v66, v51
	v_fmac_f16_e32 v77, v71, v43
	v_fma_f16 v16, v16, v44, -v78
	v_fmac_f16_e32 v79, v73, v44
	v_sub_f16_e32 v2, v0, v2
	v_sub_f16_e32 v3, v1, v3
	;; [unrolled: 1-line block ×3, first 2 shown]
	v_fma_f16 v51, v66, 2.0, -v46
	v_sub_f16_e32 v15, v4, v15
	v_sub_f16_e32 v66, v70, v77
	;; [unrolled: 1-line block ×4, first 2 shown]
	v_fma_f16 v0, v0, 2.0, -v2
	v_pack_b32_f16 v2, v2, v46
	v_fma_f16 v1, v1, 2.0, -v3
	v_fma_f16 v46, v67, 2.0, -v52
	;; [unrolled: 1-line block ×6, first 2 shown]
	v_pack_b32_f16 v0, v0, v51
	v_pack_b32_f16 v3, v3, v52
	v_pack_b32_f16 v1, v1, v46
	v_pack_b32_f16 v15, v15, v66
	v_pack_b32_f16 v4, v4, v67
	v_pack_b32_f16 v16, v16, v68
	v_pack_b32_f16 v5, v5, v69
	ds_store_2addr_b32 v45, v0, v2 offset1:13
	ds_store_2addr_b32 v47, v1, v3 offset1:13
	;; [unrolled: 1-line block ×4, first 2 shown]
	global_wb scope:SCOPE_SE
	s_wait_dscnt 0x0
	s_barrier_signal -1
	s_barrier_wait -1
	global_inv scope:SCOPE_SE
	s_clause 0x3
	global_load_b32 v52, v50, s[0:1] offset:52
	global_load_b32 v51, v74, s[0:1] offset:52
	;; [unrolled: 1-line block ×4, first 2 shown]
	v_lshrrev_b16 v69, 12, v18
	v_and_b32_e32 v1, 0xffff, v58
	v_mul_lo_u16 v2, v56, 52
	v_mad_u16 v4, v60, 52, v63
	v_mad_u16 v5, v61, 52, v64
	v_mul_lo_u16 v0, v69, 52
	v_mul_u32_u24_e32 v1, 52, v1
	v_sub_nc_u16 v71, v17, v2
	v_mad_u16 v17, v62, 52, v65
	v_and_b32_e32 v61, 0xffff, v4
	v_sub_nc_u16 v0, v29, v0
	v_add_lshl_u32 v59, v1, v59, 2
	v_and_b32_e32 v62, 0xffff, v5
	v_mul_lo_u16 v60, v71, 12
	v_and_b32_e32 v63, 0xffff, v17
	v_and_b32_e32 v58, 0xff, v0
	ds_load_2addr_b32 v[0:1], v33 offset1:208
	ds_load_2addr_b32 v[2:3], v95 offset1:208
	ds_load_2addr_b32 v[4:5], v94 offset0:32 offset1:240
	ds_load_2addr_b32 v[15:16], v96 offset0:32 offset1:240
	v_and_b32_e32 v64, 0xffff, v60
	v_lshlrev_b32_e32 v60, 2, v61
	v_lshlrev_b32_e32 v61, 2, v62
	;; [unrolled: 1-line block ×3, first 2 shown]
	v_mad_co_u64_u32 v[17:18], null, v58, 12, s[0:1]
	v_add_co_u32 v65, s2, s0, v64
	s_wait_alu 0xf1ff
	v_add_co_ci_u32_e64 v66, null, s1, 0, s2
	global_wb scope:SCOPE_SE
	s_wait_loadcnt_dscnt 0x0
	s_barrier_signal -1
	s_barrier_wait -1
	global_inv scope:SCOPE_SE
	v_mad_u16 v56, 0xd0, v56, v71
	v_lshrrev_b32_e32 v70, 16, v0
	v_lshrrev_b32_e32 v72, 16, v2
	;; [unrolled: 1-line block ×12, first 2 shown]
	s_delay_alu instid0(VALU_DEP_4)
	v_mul_f16_e32 v79, v72, v68
	v_mul_f16_e32 v80, v2, v68
	;; [unrolled: 1-line block ×8, first 2 shown]
	v_fma_f16 v2, v2, v52, -v79
	v_fmac_f16_e32 v80, v72, v52
	v_fma_f16 v3, v3, v51, -v81
	v_fmac_f16_e32 v82, v74, v51
	v_fma_f16 v15, v15, v50, -v83
	v_fmac_f16_e32 v84, v76, v50
	v_fma_f16 v16, v16, v46, -v85
	v_fmac_f16_e32 v86, v78, v46
	v_sub_f16_e32 v2, v0, v2
	v_sub_f16_e32 v72, v70, v80
	;; [unrolled: 1-line block ×8, first 2 shown]
	v_fma_f16 v0, v0, 2.0, -v2
	v_fma_f16 v70, v70, 2.0, -v72
	v_fma_f16 v1, v1, 2.0, -v3
	v_fma_f16 v73, v73, 2.0, -v74
	v_fma_f16 v4, v4, 2.0, -v15
	v_fma_f16 v75, v75, 2.0, -v76
	v_fma_f16 v5, v5, 2.0, -v16
	v_fma_f16 v77, v77, 2.0, -v78
	v_pack_b32_f16 v2, v2, v72
	v_pack_b32_f16 v0, v0, v70
	;; [unrolled: 1-line block ×8, first 2 shown]
	ds_store_2addr_b32 v59, v0, v2 offset1:26
	ds_store_2addr_b32 v60, v1, v3 offset1:26
	;; [unrolled: 1-line block ×4, first 2 shown]
	global_wb scope:SCOPE_SE
	s_wait_dscnt 0x0
	s_barrier_signal -1
	s_barrier_wait -1
	global_inv scope:SCOPE_SE
	s_clause 0x1
	global_load_b96 v[3:5], v[17:18], off offset:156
	global_load_b96 v[0:2], v[65:66], off offset:156
	v_and_b32_e32 v65, 0xffff, v69
	v_mul_lo_u16 v66, 0xd0, v14
	v_mul_lo_u16 v72, 0xd0, v13
	ds_load_2addr_b32 v[13:14], v33 offset1:208
	ds_load_2addr_b32 v[15:16], v94 offset0:32 offset1:240
	ds_load_2addr_b32 v[17:18], v95 offset1:208
	ds_load_2addr_b32 v[69:70], v96 offset0:32 offset1:240
	v_lshlrev_b32_e32 v82, 2, v29
	v_mul_u32_u24_e32 v65, 0xd0, v65
	v_sub_nc_u16 v11, v11, v66
	v_sub_nc_u16 v12, v12, v72
	v_and_b32_e32 v66, 0xffff, v56
	global_wb scope:SCOPE_SE
	s_wait_loadcnt_dscnt 0x0
	v_add_lshl_u32 v65, v65, v58, 2
	v_and_b32_e32 v11, 0xffff, v11
	v_and_b32_e32 v12, 0xffff, v12
	v_lshlrev_b32_e32 v66, 2, v66
	s_barrier_signal -1
	s_barrier_wait -1
	v_lshlrev_b32_e32 v58, 2, v11
	v_lshlrev_b32_e32 v56, 2, v12
	global_inv scope:SCOPE_SE
	v_lshrrev_b32_e32 v11, 16, v13
	v_lshrrev_b32_e32 v12, 16, v15
	;; [unrolled: 1-line block ×14, first 2 shown]
	v_mul_f16_e32 v81, v12, v86
	v_mul_f16_e32 v83, v15, v86
	;; [unrolled: 1-line block ×12, first 2 shown]
	v_fma_f16 v15, v15, v3, -v81
	v_fmac_f16_e32 v83, v12, v3
	v_fma_f16 v12, v17, v4, -v85
	v_fmac_f16_e32 v87, v71, v4
	;; [unrolled: 2-line block ×6, first 2 shown]
	v_sub_f16_e32 v12, v13, v12
	v_sub_f16_e32 v70, v11, v87
	;; [unrolled: 1-line block ×8, first 2 shown]
	v_fma_f16 v13, v13, 2.0, -v12
	v_fma_f16 v11, v11, 2.0, -v70
	;; [unrolled: 1-line block ×8, first 2 shown]
	v_sub_f16_e32 v71, v12, v71
	v_add_f16_e32 v17, v70, v17
	v_sub_f16_e32 v15, v13, v15
	v_sub_f16_e32 v79, v11, v79
	;; [unrolled: 1-line block ×3, first 2 shown]
	v_add_f16_e32 v69, v72, v69
	v_sub_f16_e32 v16, v14, v16
	v_sub_f16_e32 v80, v73, v80
	v_fma_f16 v12, v12, 2.0, -v71
	v_fma_f16 v70, v70, 2.0, -v17
	;; [unrolled: 1-line block ×6, first 2 shown]
	v_pack_b32_f16 v17, v71, v17
	v_fma_f16 v14, v14, 2.0, -v16
	v_fma_f16 v71, v73, 2.0, -v80
	v_pack_b32_f16 v15, v15, v79
	v_pack_b32_f16 v12, v12, v70
	;; [unrolled: 1-line block ×7, first 2 shown]
	ds_store_2addr_b32 v65, v15, v17 offset0:104 offset1:156
	ds_store_2addr_b32 v65, v11, v12 offset1:52
	ds_store_2addr_b32 v66, v13, v18 offset1:52
	ds_store_2addr_b32 v66, v14, v69 offset0:104 offset1:156
	global_wb scope:SCOPE_SE
	s_wait_dscnt 0x0
	s_barrier_signal -1
	s_barrier_wait -1
	global_inv scope:SCOPE_SE
	s_clause 0x2
	global_load_b32 v71, v82, s[0:1] offset:780
	global_load_b32 v70, v58, s[0:1] offset:780
	;; [unrolled: 1-line block ×3, first 2 shown]
	ds_load_2addr_b32 v[11:12], v33 offset1:208
	ds_load_2addr_b32 v[13:14], v95 offset1:208
	ds_load_2addr_b32 v[15:16], v94 offset0:32 offset1:240
	ds_load_2addr_b32 v[17:18], v96 offset0:32 offset1:240
	v_add_nc_u32_e32 v72, 0xd00, v58
	v_add_nc_u32_e32 v73, 0x1300, v56
	global_wb scope:SCOPE_SE
	s_wait_loadcnt_dscnt 0x0
	s_barrier_signal -1
	s_barrier_wait -1
	global_inv scope:SCOPE_SE
	v_lshrrev_b32_e32 v80, 16, v11
	v_lshrrev_b32_e32 v83, 16, v13
	;; [unrolled: 1-line block ×11, first 2 shown]
	s_delay_alu instid0(VALU_DEP_3)
	v_mul_f16_e32 v92, v83, v81
	v_mul_f16_e32 v93, v13, v81
	;; [unrolled: 1-line block ×8, first 2 shown]
	v_fma_f16 v13, v13, v71, -v92
	v_fmac_f16_e32 v93, v83, v71
	v_fma_f16 v14, v14, v71, -v97
	v_fmac_f16_e32 v98, v87, v71
	;; [unrolled: 2-line block ×4, first 2 shown]
	v_sub_f16_e32 v13, v11, v13
	v_sub_f16_e32 v83, v80, v93
	;; [unrolled: 1-line block ×8, first 2 shown]
	v_fma_f16 v11, v11, 2.0, -v13
	v_fma_f16 v80, v80, 2.0, -v83
	;; [unrolled: 1-line block ×8, first 2 shown]
	v_pack_b32_f16 v13, v13, v83
	v_pack_b32_f16 v11, v11, v80
	;; [unrolled: 1-line block ×8, first 2 shown]
	ds_store_2addr_b32 v33, v11, v13 offset1:208
	ds_store_2addr_b32 v94, v12, v14 offset0:32 offset1:240
	ds_store_2addr_b32 v72, v15, v17 offset1:208
	ds_store_2addr_b32 v73, v16, v18 offset0:32 offset1:240
	global_wb scope:SCOPE_SE
	s_wait_dscnt 0x0
	s_barrier_signal -1
	s_barrier_wait -1
	global_inv scope:SCOPE_SE
	s_clause 0x1
	global_load_b32 v73, v82, s[0:1] offset:1612
	global_load_b32 v72, v82, s[0:1] offset:2444
	ds_load_2addr_b32 v[11:12], v33 offset1:208
	ds_load_2addr_b32 v[13:14], v95 offset1:208
	ds_load_2addr_b32 v[15:16], v94 offset0:32 offset1:240
	ds_load_2addr_b32 v[17:18], v96 offset0:32 offset1:240
	global_wb scope:SCOPE_SE
	s_wait_loadcnt_dscnt 0x0
	s_barrier_signal -1
	s_barrier_wait -1
	global_inv scope:SCOPE_SE
	v_lshrrev_b32_e32 v80, 16, v11
	v_lshrrev_b32_e32 v83, 16, v13
	;; [unrolled: 1-line block ×10, first 2 shown]
	s_delay_alu instid0(VALU_DEP_2) | instskip(SKIP_1) | instid1(VALU_DEP_3)
	v_mul_f16_e32 v97, v83, v88
	v_mul_f16_e32 v98, v13, v88
	;; [unrolled: 1-line block ×8, first 2 shown]
	v_fma_f16 v13, v13, v73, -v97
	v_fmac_f16_e32 v98, v83, v73
	v_fma_f16 v14, v14, v72, -v99
	v_fmac_f16_e32 v100, v89, v72
	;; [unrolled: 2-line block ×4, first 2 shown]
	v_sub_f16_e32 v13, v11, v13
	v_sub_f16_e32 v83, v80, v98
	;; [unrolled: 1-line block ×8, first 2 shown]
	v_fma_f16 v11, v11, 2.0, -v13
	v_fma_f16 v80, v80, 2.0, -v83
	;; [unrolled: 1-line block ×8, first 2 shown]
	v_pack_b32_f16 v13, v13, v83
	v_pack_b32_f16 v14, v14, v89
	;; [unrolled: 1-line block ×8, first 2 shown]
	ds_store_2addr_b32 v94, v13, v14 offset0:32 offset1:240
	ds_store_2addr_b32 v96, v17, v18 offset0:32 offset1:240
	ds_store_2addr_b32 v33, v11, v12 offset1:208
	ds_store_2addr_b32 v95, v15, v16 offset1:208
	global_wb scope:SCOPE_SE
	s_wait_dscnt 0x0
	s_barrier_signal -1
	s_barrier_wait -1
	global_inv scope:SCOPE_SE
	s_clause 0x3
	global_load_b32 v80, v82, s[0:1] offset:3276
	global_load_b32 v83, v82, s[0:1] offset:4108
	global_load_b32 v85, v82, s[0:1] offset:4940
	global_load_b32 v82, v82, s[0:1] offset:5772
	ds_load_2addr_b32 v[102:103], v33 offset1:208
	ds_load_2addr_b32 v[11:12], v95 offset1:208
	ds_load_2addr_b32 v[104:105], v94 offset0:32 offset1:240
	ds_load_2addr_b32 v[13:14], v96 offset0:32 offset1:240
	s_wait_dscnt 0x3
	v_lshrrev_b32_e32 v15, 16, v102
	s_wait_dscnt 0x2
	v_lshrrev_b32_e32 v16, 16, v11
	v_lshrrev_b32_e32 v18, 16, v12
	s_wait_dscnt 0x0
	v_lshrrev_b32_e32 v93, 16, v13
	v_lshrrev_b32_e32 v97, 16, v14
	;; [unrolled: 1-line block ×5, first 2 shown]
	s_wait_loadcnt 0x3
	v_lshrrev_b32_e32 v92, 16, v80
	s_wait_loadcnt 0x2
	v_lshrrev_b32_e32 v91, 16, v83
	;; [unrolled: 2-line block ×4, first 2 shown]
	v_mul_f16_e32 v98, v16, v92
	v_mul_f16_e32 v99, v11, v92
	;; [unrolled: 1-line block ×8, first 2 shown]
	v_fma_f16 v11, v11, v80, -v98
	v_fmac_f16_e32 v99, v16, v80
	v_fma_f16 v16, v12, v83, -v101
	v_fmac_f16_e32 v107, v18, v83
	;; [unrolled: 2-line block ×4, first 2 shown]
	v_sub_f16_e32 v12, v102, v11
	v_sub_f16_e32 v101, v15, v99
	;; [unrolled: 1-line block ×8, first 2 shown]
	v_fma_f16 v11, v102, 2.0, -v12
	v_fma_f16 v93, v15, 2.0, -v101
	;; [unrolled: 1-line block ×8, first 2 shown]
	v_pack_b32_f16 v104, v12, v101
	v_pack_b32_f16 v105, v14, v99
	;; [unrolled: 1-line block ×8, first 2 shown]
	ds_store_2addr_b32 v95, v104, v105 offset1:208
	ds_store_2addr_b32 v96, v106, v107 offset0:32 offset1:240
	ds_store_2addr_b32 v33, v108, v109 offset1:208
	ds_store_2addr_b32 v94, v110, v111 offset0:32 offset1:240
	global_wb scope:SCOPE_SE
	s_wait_dscnt 0x0
	s_barrier_signal -1
	s_barrier_wait -1
	global_inv scope:SCOPE_SE
	s_and_saveexec_b32 s2, vcc_lo
	s_cbranch_execz .LBB0_9
; %bb.8:
	global_load_b32 v94, v23, s[24:25] offset:6656
	s_add_nc_u64 s[0:1], s[24:25], 0x1a00
	s_clause 0xb
	global_load_b32 v96, v23, s[0:1] offset:512
	global_load_b32 v114, v23, s[0:1] offset:1024
	global_load_b32 v115, v23, s[0:1] offset:1536
	global_load_b32 v116, v23, s[0:1] offset:2048
	global_load_b32 v117, v23, s[0:1] offset:2560
	global_load_b32 v118, v23, s[0:1] offset:3072
	global_load_b32 v119, v23, s[0:1] offset:3584
	global_load_b32 v120, v23, s[0:1] offset:4096
	global_load_b32 v121, v23, s[0:1] offset:4608
	global_load_b32 v122, v23, s[0:1] offset:5120
	global_load_b32 v123, v23, s[0:1] offset:5632
	global_load_b32 v124, v23, s[0:1] offset:6144
	ds_load_b32 v95, v33
	s_wait_dscnt 0x0
	v_lshrrev_b32_e32 v104, 16, v95
	s_wait_loadcnt 0xb
	v_lshrrev_b32_e32 v125, 16, v96
	s_wait_loadcnt 0xa
	;; [unrolled: 2-line block ×8, first 2 shown]
	v_lshrrev_b32_e32 v132, 16, v120
	v_lshrrev_b32_e32 v105, 16, v94
	s_wait_loadcnt 0x3
	v_lshrrev_b32_e32 v133, 16, v121
	s_wait_loadcnt 0x2
	;; [unrolled: 2-line block ×4, first 2 shown]
	v_lshrrev_b32_e32 v136, 16, v124
	v_mul_f16_e32 v106, v104, v105
	v_mul_f16_e32 v105, v95, v105
	s_delay_alu instid0(VALU_DEP_2) | instskip(NEXT) | instid1(VALU_DEP_2)
	v_fma_f16 v95, v95, v94, -v106
	v_fmac_f16_e32 v105, v104, v94
	s_delay_alu instid0(VALU_DEP_1)
	v_pack_b32_f16 v94, v95, v105
	ds_store_b32 v33, v94
	ds_load_2addr_stride64_b32 v[94:95], v23 offset0:2 offset1:4
	ds_load_2addr_stride64_b32 v[104:105], v23 offset0:6 offset1:8
	;; [unrolled: 1-line block ×6, first 2 shown]
	s_wait_dscnt 0x5
	v_lshrrev_b32_e32 v137, 16, v94
	v_lshrrev_b32_e32 v139, 16, v95
	s_wait_dscnt 0x4
	v_lshrrev_b32_e32 v141, 16, v104
	v_lshrrev_b32_e32 v143, 16, v105
	;; [unrolled: 3-line block ×5, first 2 shown]
	v_mul_f16_e64 v138, v94, v125
	v_mul_f16_e64 v140, v95, v126
	s_wait_dscnt 0x0
	v_lshrrev_b32_e32 v157, 16, v112
	v_lshrrev_b32_e32 v159, 16, v113
	v_mul_f16_e64 v125, v137, v125
	v_mul_f16_e64 v126, v139, v126
	;; [unrolled: 1-line block ×20, first 2 shown]
	v_fmac_f16_e64 v138, v137, v96
	v_fmac_f16_e64 v140, v139, v114
	v_mul_f16_e64 v135, v157, v135
	v_mul_f16_e64 v136, v159, v136
	v_fma_f16 v94, v94, v96, -v125
	v_fma_f16 v95, v95, v114, -v126
	v_fmac_f16_e64 v142, v141, v115
	v_fmac_f16_e64 v144, v143, v116
	v_fma_f16 v96, v104, v115, -v127
	v_fma_f16 v104, v105, v116, -v128
	v_fmac_f16_e64 v146, v145, v117
	v_fmac_f16_e64 v148, v147, v118
	;; [unrolled: 4-line block ×5, first 2 shown]
	v_fma_f16 v111, v112, v123, -v135
	v_fma_f16 v112, v113, v124, -v136
	v_pack_b32_f16 v94, v94, v138
	v_pack_b32_f16 v95, v95, v140
	;; [unrolled: 1-line block ×12, first 2 shown]
	ds_store_2addr_stride64_b32 v23, v94, v95 offset0:2 offset1:4
	ds_store_2addr_stride64_b32 v23, v96, v104 offset0:6 offset1:8
	;; [unrolled: 1-line block ×6, first 2 shown]
.LBB0_9:
	s_wait_alu 0xfffe
	s_or_b32 exec_lo, exec_lo, s2
	global_wb scope:SCOPE_SE
	s_wait_dscnt 0x0
	s_barrier_signal -1
	s_barrier_wait -1
	global_inv scope:SCOPE_SE
	s_and_saveexec_b32 s0, vcc_lo
	s_cbranch_execz .LBB0_11
; %bb.10:
	ds_load_2addr_stride64_b32 v[11:12], v33 offset1:2
	ds_load_2addr_stride64_b32 v[13:14], v33 offset0:4 offset1:6
	ds_load_2addr_stride64_b32 v[15:16], v33 offset0:8 offset1:10
	;; [unrolled: 1-line block ×5, first 2 shown]
	ds_load_b32 v35, v33 offset:6144
	s_wait_dscnt 0x6
	v_lshrrev_b32_e32 v93, 16, v11
	v_lshrrev_b32_e32 v101, 16, v12
	s_wait_dscnt 0x5
	v_lshrrev_b32_e32 v103, 16, v13
	v_lshrrev_b32_e32 v99, 16, v14
	;; [unrolled: 3-line block ×6, first 2 shown]
	s_wait_dscnt 0x0
	v_lshrrev_b32_e32 v36, 16, v35
.LBB0_11:
	s_wait_alu 0xfffe
	s_or_b32 exec_lo, exec_lo, s0
	global_wb scope:SCOPE_SE
	s_barrier_signal -1
	s_barrier_wait -1
	global_inv scope:SCOPE_SE
	s_and_saveexec_b32 s0, vcc_lo
	s_cbranch_execz .LBB0_13
; %bb.12:
	v_sub_f16_e32 v106, v12, v35
	v_add_f16_e32 v117, v36, v101
	v_sub_f16_e32 v96, v13, v8
	v_add_f16_e32 v118, v37, v103
	v_sub_f16_e32 v94, v14, v7
	v_mul_f16_e32 v107, 0xb3a8, v106
	v_add_f16_e32 v119, v38, v99
	v_mul_f16_e32 v112, 0x3770, v96
	v_sub_f16_e32 v95, v15, v10
	v_mul_f16_e32 v113, 0xb94e, v94
	v_fmamk_f16 v105, v117, 0xbbc4, v107
	v_add_f16_e32 v120, v39, v102
	v_fmamk_f16 v108, v118, 0x3b15, v112
	v_sub_f16_e32 v104, v16, v9
	v_mul_f16_e32 v114, 0x3a95, v95
	v_add_f16_e32 v109, v93, v105
	v_fmamk_f16 v110, v119, 0xb9fd, v113
	v_add_f16_e32 v121, v40, v98
	v_sub_f16_e32 v105, v17, v18
	v_mul_f16_e32 v115, 0xbb7b, v104
	v_add_f16_e32 v109, v108, v109
	v_fmamk_f16 v111, v120, 0x388b, v114
	v_sub_f16_e32 v122, v101, v36
	v_mul_f16_e32 v127, 0x3bf1, v105
	v_fmamk_f16 v124, v121, 0xb5ac, v115
	v_add_f16_e32 v110, v110, v109
	v_add_f16_e64 v129, v97, v100
	v_add_f16_e32 v108, v35, v12
	v_mul_f16_e32 v116, 0xb3a8, v122
	v_sub_f16_e32 v123, v103, v37
	v_add_f16_e32 v111, v111, v110
	v_fma_f16 v133, 0x2fb7, v129, v127
	v_fma_f16 v135, v117, 0xbbc4, -v107
	v_add_f16_e32 v109, v8, v13
	v_fma_f16 v125, v108, 0xbbc4, -v116
	v_add_f16_e32 v124, v124, v111
	v_mul_f16_e32 v126, 0x3770, v123
	v_sub_f16_e64 v128, v99, v38
	v_add_f16_e32 v110, v7, v14
	v_add_f16_e32 v125, v11, v125
	v_add_f16_e64 v107, v133, v124
	v_add_f16_e64 v133, v93, v135
	v_fma_f16 v135, v118, 0x3b15, -v112
	v_fma_f16 v130, v109, 0x3b15, -v126
	v_mul_f16_e64 v131, 0xb94e, v128
	v_sub_f16_e64 v132, v102, v39
	v_fmac_f16_e32 v116, 0xbbc4, v108
	v_add_f16_e64 v133, v135, v133
	v_fma_f16 v135, v119, 0xb9fd, -v113
	v_add_f16_e64 v125, v130, v125
	v_fma_f16 v130, v110, 0xb9fd, -v131
	v_add_f16_e32 v111, v10, v15
	v_mul_f16_e64 v134, 0x3a95, v132
	v_add_f16_e64 v133, v135, v133
	v_fma_f16 v114, v120, 0x388b, -v114
	v_add_f16_e32 v116, v11, v116
	v_fmac_f16_e32 v126, 0x3b15, v109
	v_add_f16_e64 v124, v130, v125
	v_sub_f16_e32 v125, v98, v40
	v_fma_f16 v130, v111, 0x388b, -v134
	v_add_f16_e64 v133, v114, v133
	v_fma_f16 v115, v121, 0xb5ac, -v115
	v_add_f16_e32 v116, v126, v116
	v_fmac_f16_e64 v131, 0xb9fd, v110
	v_add_f16_e32 v112, v9, v16
	v_mul_f16_e64 v136, 0xbb7b, v125
	v_add_f16_e64 v124, v130, v124
	v_sub_f16_e64 v130, v100, v97
	v_add_f16_e64 v115, v115, v133
	v_add_f16_e64 v116, v131, v116
	v_fmac_f16_e64 v134, 0x388b, v111
	v_fma_f16 v127, v129, 0x2fb7, -v127
	v_fma_f16 v137, v112, 0xb5ac, -v136
	v_add_f16_e32 v113, v18, v17
	v_mul_f16_e64 v138, 0x3bf1, v130
	v_add_f16_e64 v116, v134, v116
	v_fmac_f16_e64 v136, 0xb5ac, v112
	v_add_f16_e32 v115, v127, v115
	v_mul_f16_e32 v127, 0xb94e, v122
	v_add_f16_e64 v124, v137, v124
	v_fma_f16 v135, v113, 0x2fb7, -v138
	v_mul_f16_e64 v137, 0xb9fd, v117
	v_add_f16_e64 v116, v136, v116
	v_fmac_f16_e64 v138, 0x2fb7, v113
	v_fma_f16 v136, 0xb9fd, v108, v127
	v_mul_f16_e64 v139, 0x3bf1, v123
	v_add_f16_e64 v114, v135, v124
	v_fma_f16 v124, 0x394e, v106, v137
	v_mul_f16_e32 v126, 0x2fb7, v118
	v_add_f16_e64 v116, v138, v116
	v_add_f16_e64 v136, v11, v136
	v_fma_f16 v138, 0x2fb7, v109, v139
	v_mul_f16_e64 v140, 0xba95, v128
	v_add_f16_e32 v124, v93, v124
	v_fma_f16 v131, 0xbbf1, v96, v126
	v_mul_f16_e64 v133, 0x388b, v119
	v_add_f16_e64 v136, v138, v136
	v_fma_f16 v138, 0x388b, v110, v140
	v_mul_f16_e64 v142, 0x33a8, v132
	v_add_f16_e64 v124, v131, v124
	;; [unrolled: 3-line block ×7, first 2 shown]
	v_mul_f16_e64 v138, 0xbb7b, v130
	v_fma_f16 v144, 0x3b7b, v106, v141
	v_add_f16_e64 v124, v131, v124
	v_mul_f16_e64 v131, 0xb5ac, v129
	v_mul_f16_e64 v145, 0xb9fd, v118
	v_fma_f16 v151, 0xb5ac, v113, v138
	v_fma_f16 v152, 0xb5ac, v108, v149
	v_mul_f16_e64 v153, 0x394e, v123
	v_fma_f16 v143, 0x3b7b, v105, v131
	v_add_f16_e64 v144, v93, v144
	v_fma_f16 v147, 0xb94e, v96, v145
	v_mul_f16_e64 v148, 0x3b15, v119
	v_add_f16_e64 v136, v151, v136
	v_add_f16_e64 v151, v11, v152
	v_fma_f16 v152, 0xb9fd, v109, v153
	v_mul_f16_e64 v154, 0x3770, v128
	v_add_f16_e64 v124, v143, v124
	;; [unrolled: 4-line block ×3, first 2 shown]
	v_fma_f16 v152, 0x3b15, v110, v154
	v_mul_f16_e64 v156, 0xbbf1, v132
	v_add_f16_e64 v143, v144, v143
	v_fma_f16 v144, 0x3bf1, v95, v147
	v_mul_f16_e64 v150, 0xbbc4, v121
	v_add_f16_e64 v151, v152, v151
	;; [unrolled: 3-line block ×5, first 2 shown]
	v_mul_f16_e64 v144, 0x388b, v129
	v_fma_f16 v158, 0x3bf1, v106, v155
	v_add_f16_e64 v151, v152, v151
	v_mul_f16_e64 v152, 0x3a95, v130
	v_mul_f16_e64 v163, 0xbbf1, v122
	v_fma_f16 v157, 0xba95, v105, v144
	v_add_f16_e64 v158, v93, v158
	v_fma_f16 v161, 0x33a8, v96, v159
	v_mul_f16_e64 v162, 0xb5ac, v119
	v_fma_f16 v165, 0x388b, v113, v152
	v_fma_f16 v166, 0x2fb7, v108, v163
	v_mul_f16_e64 v167, 0xb3a8, v123
	v_add_f16_e64 v143, v157, v143
	v_add_f16_e64 v157, v161, v158
	v_fma_f16 v158, 0xbb7b, v94, v162
	v_mul_f16_e64 v161, 0x3b15, v120
	v_add_f16_e64 v151, v165, v151
	v_add_f16_e64 v165, v11, v166
	v_fma_f16 v166, 0xbbc4, v109, v167
	v_mul_f16_e64 v168, 0x3b7b, v128
	v_add_f16_e64 v157, v158, v157
	v_fma_f16 v158, 0xb770, v95, v161
	v_mul_f16_e64 v164, 0x388b, v121
	;; [unrolled: 3-line block ×5, first 2 shown]
	v_add_f16_e32 v12, v12, v11
	v_add_f16_e64 v157, v158, v157
	v_mul_f16_e64 v158, 0xb9fd, v129
	v_fma_f16 v172, 0x3a95, v106, v169
	v_mul_f16_e64 v173, 0xb5ac, v118
	v_add_f16_e64 v165, v166, v165
	v_fma_f16 v166, 0x388b, v112, v174
	v_add_f16_e32 v101, v101, v93
	v_add_f16_e32 v12, v13, v12
	v_fma_f16 v171, 0x394e, v105, v158
	v_add_f16_e64 v172, v93, v172
	v_fma_f16 v175, 0x3b7b, v96, v173
	v_mul_f16_e64 v176, 0xbbc4, v119
	v_add_f16_e64 v165, v166, v165
	v_mul_f16_e64 v166, 0xb94e, v130
	v_mul_f16_e64 v177, 0xba95, v122
	v_mul_f16_e32 v122, 0xb770, v122
	v_add_f16_e32 v13, v103, v101
	v_add_f16_e32 v12, v14, v12
	v_add_f16_e64 v157, v171, v157
	v_add_f16_e64 v171, v175, v172
	v_fma_f16 v172, 0x33a8, v94, v176
	v_mul_f16_e64 v175, 0xb9fd, v120
	v_mul_f16_e64 v178, 0x2fb7, v121
	v_fma_f16 v179, 0xb9fd, v113, v166
	v_fma_f16 v180, 0x388b, v108, v177
	v_mul_f16_e64 v181, 0xbb7b, v123
	v_mul_f16_e32 v101, 0xb9fd, v121
	v_fmamk_f16 v103, v108, 0x3b15, v122
	v_mul_f16_e32 v121, 0xba95, v123
	v_add_f16_e32 v13, v99, v13
	v_add_f16_e32 v12, v15, v12
	v_add_f16_e64 v171, v172, v171
	v_fma_f16 v172, 0xb94e, v95, v175
	v_add_f16_e64 v165, v179, v165
	v_add_f16_e64 v179, v11, v180
	v_fma_f16 v180, 0xb5ac, v109, v181
	v_mul_f16_e64 v182, 0xb3a8, v128
	v_mul_f16_e32 v117, 0x3b15, v117
	v_add_f16_e32 v99, v11, v103
	v_fmamk_f16 v103, v109, 0x388b, v121
	v_add_f16_e32 v13, v102, v13
	v_mul_f16_e64 v15, 0xbbf1, v128
	v_add_f16_e32 v12, v16, v12
	v_add_f16_e64 v171, v172, v171
	v_fma_f16 v172, 0xbbf1, v104, v178
	v_add_f16_e64 v179, v180, v179
	v_fma_f16 v180, 0xbbc4, v110, v182
	v_mul_f16_e64 v183, 0x394e, v132
	v_fma_f16 v185, 0x3770, v106, v117
	v_mul_f16_e32 v118, 0x388b, v118
	v_add_f16_e32 v99, v103, v99
	v_add_f16_e32 v13, v98, v13
	v_fmamk_f16 v16, v110, 0x2fb7, v15
	v_mul_f16_e64 v98, 0xbb7b, v132
	v_add_f16_e32 v12, v17, v12
	v_add_f16_e64 v171, v172, v171
	v_mul_f16_e64 v172, 0x3b15, v129
	v_add_f16_e64 v179, v180, v179
	v_fma_f16 v180, 0xb9fd, v111, v183
	v_mul_f16_e64 v186, 0x3bf1, v125
	v_add_f16_e64 v185, v93, v185
	v_fma_f16 v187, 0x3a95, v96, v118
	v_mul_f16_e32 v119, 0x2fb7, v119
	v_add_f16_e32 v13, v100, v13
	v_add_f16_e32 v16, v16, v99
	v_fmamk_f16 v17, v111, 0xb5ac, v98
	v_add_f16_e32 v12, v18, v12
	v_fma_f16 v184, 0xb770, v105, v172
	v_add_f16_e64 v179, v180, v179
	v_fma_f16 v180, 0x2fb7, v112, v186
	v_mul_f16_e64 v188, 0x3770, v130
	v_add_f16_e64 v185, v187, v185
	v_fma_f16 v187, 0x3bf1, v94, v119
	v_mul_f16_e32 v120, 0xb5ac, v120
	v_add_f16_e32 v13, v97, v13
	v_fmac_f16_e64 v137, 0xb94e, v106
	v_add_f16_e32 v16, v17, v16
	v_mul_f16_e32 v17, 0xb94e, v125
	v_add_f16_e32 v9, v9, v12
	v_add_f16_e64 v171, v184, v171
	v_add_f16_e64 v179, v180, v179
	v_fma_f16 v180, 0x3b15, v113, v188
	v_add_f16_e64 v184, v187, v185
	v_fma_f16 v185, 0x3b7b, v95, v120
	v_add_f16_e32 v12, v40, v13
	v_add_f16_e64 v13, v93, v137
	v_fmac_f16_e32 v126, 0x3bf1, v96
	v_fmamk_f16 v18, v112, 0xb9fd, v17
	v_mul_f16_e64 v40, 0xb3a8, v130
	v_add_f16_e32 v9, v10, v9
	v_add_f16_e64 v179, v180, v179
	v_add_f16_e64 v180, v185, v184
	v_fmamk_f16 v14, v104, 0x394e, v101
	v_mul_f16_e64 v102, 0xbbc4, v129
	v_add_f16_e32 v10, v39, v12
	v_add_f16_e32 v12, v126, v13
	;; [unrolled: 1-line block ×3, first 2 shown]
	v_fmamk_f16 v16, v113, 0xbbc4, v40
	v_add_f16_e32 v7, v7, v9
	v_add_f16_e64 v14, v14, v180
	v_fmamk_f16 v99, v105, 0x33a8, v102
	v_fmac_f16_e64 v133, 0xba95, v94
	v_add_f16_e32 v9, v38, v10
	v_add_f16_e32 v7, v8, v7
	;; [unrolled: 1-line block ×3, first 2 shown]
	v_fma_f16 v13, v108, 0xb9fd, -v127
	v_add_f16_e64 v10, v133, v12
	v_add_f16_e32 v12, v99, v14
	v_fma_f16 v14, v109, 0x2fb7, -v139
	v_add_f16_e32 v9, v37, v9
	v_add_f16_e32 v13, v11, v13
	v_fma_f16 v18, v108, 0xb5ac, -v149
	v_add_f16_e32 v7, v35, v7
	v_fma_f16 v35, v109, 0xb9fd, -v153
	v_add_f16_e32 v9, v36, v9
	v_add_f16_e32 v13, v14, v13
	v_fma_f16 v14, v110, 0x388b, -v140
	v_add_f16_e32 v18, v11, v18
	v_fma_f16 v36, v109, 0xbbc4, -v167
	v_fmac_f16_e64 v169, 0xba95, v106
	v_fmac_f16_e64 v173, 0xbb7b, v96
	v_add_f16_e32 v13, v14, v13
	v_fma_f16 v14, v111, 0xbbc4, -v142
	v_add_f16_e32 v18, v35, v18
	v_fma_f16 v35, v110, 0x3b15, -v154
	v_add_f16_e64 v38, v93, v169
	v_fmac_f16_e64 v176, 0xb3a8, v94
	v_add_f16_e32 v13, v14, v13
	v_fma_f16 v14, v112, 0x3b15, -v146
	v_add_f16_e32 v18, v35, v18
	v_fma_f16 v35, v111, 0x2fb7, -v156
	v_add_f16_e64 v38, v173, v38
	;; [unrolled: 6-line block ×3, first 2 shown]
	v_fma_f16 v37, v113, 0x388b, -v152
	v_add_f16_e32 v13, v14, v13
	v_fma_f16 v14, v108, 0x2fb7, -v163
	v_add_f16_e32 v18, v35, v18
	v_add_f16_e64 v38, v175, v38
	v_fmac_f16_e64 v178, 0x3bf1, v104
	v_fmac_f16_e64 v141, 0xbb7b, v106
	v_add_f16_e32 v14, v11, v14
	v_fmac_f16_e64 v155, 0xbbf1, v106
	v_add_f16_e32 v18, v37, v18
	v_add_f16_e64 v37, v178, v38
	v_fmac_f16_e32 v117, 0xb770, v106
	v_add_f16_e32 v14, v36, v14
	v_fma_f16 v36, v110, 0xb5ac, -v168
	v_fma_f16 v38, v108, 0x3b15, -v122
	v_add_f16_e64 v16, v93, v141
	v_fmac_f16_e64 v145, 0x394e, v96
	v_add_f16_e64 v35, v93, v155
	v_add_f16_e32 v14, v36, v14
	v_fma_f16 v36, v111, 0x3b15, -v170
	v_fmac_f16_e64 v159, 0xb3a8, v96
	v_fma_f16 v39, v109, 0xb5ac, -v181
	v_add_f16_e32 v93, v93, v117
	v_fmac_f16_e32 v118, 0xba95, v96
	v_add_f16_e32 v14, v36, v14
	v_fma_f16 v36, v112, 0x388b, -v174
	v_add_f16_e64 v16, v145, v16
	v_fmac_f16_e64 v148, 0x3770, v94
	v_add_f16_e64 v35, v159, v35
	v_fmac_f16_e64 v162, 0x3b7b, v94
	v_add_f16_e32 v14, v36, v14
	v_fma_f16 v36, v113, 0xb9fd, -v166
	v_add_f16_e32 v93, v118, v93
	v_fmac_f16_e32 v119, 0xbbf1, v94
	v_fma_f16 v15, v110, 0x2fb7, -v15
	v_fmac_f16_e64 v134, 0x33a8, v95
	v_add_f16_e32 v14, v36, v14
	v_fma_f16 v36, v108, 0x388b, -v177
	v_add_f16_e64 v16, v148, v16
	v_fmac_f16_e64 v147, 0xbbf1, v95
	v_add_f16_e64 v35, v162, v35
	v_fmac_f16_e64 v161, 0x3770, v95
	v_add_f16_e32 v36, v11, v36
	v_add_f16_e32 v11, v11, v38
	v_fma_f16 v38, v109, 0x388b, -v121
	v_fmac_f16_e32 v120, 0xbb7b, v95
	v_add_f16_e64 v10, v134, v10
	v_add_f16_e32 v36, v39, v36
	v_fma_f16 v39, v110, 0xbbc4, -v182
	v_add_f16_e32 v11, v38, v11
	v_fma_f16 v38, v111, 0xb9fd, -v183
	v_fmac_f16_e64 v135, 0x3770, v104
	v_add_f16_e64 v16, v147, v16
	v_add_f16_e32 v36, v39, v36
	v_add_f16_e32 v39, v119, v93
	;; [unrolled: 1-line block ×3, first 2 shown]
	v_fma_f16 v15, v111, 0xb5ac, -v98
	v_fmac_f16_e64 v150, 0x33a8, v104
	v_add_f16_e64 v35, v161, v35
	v_fmac_f16_e64 v164, 0xba95, v104
	v_add_f16_e32 v36, v38, v36
	v_fma_f16 v38, v112, 0x2fb7, -v186
	v_add_f16_e32 v39, v120, v39
	v_fmac_f16_e32 v101, 0xb94e, v104
	v_add_f16_e32 v11, v15, v11
	v_fma_f16 v15, v112, 0xb9fd, -v17
	v_add_f16_e64 v10, v135, v10
	v_fmac_f16_e64 v131, 0xbb7b, v105
	v_add_f16_e64 v16, v150, v16
	v_fmac_f16_e64 v144, 0x3a95, v105
	;; [unrolled: 2-line block ×3, first 2 shown]
	v_fmac_f16_e64 v172, 0x3770, v105
	v_add_f16_e32 v17, v38, v36
	v_fma_f16 v36, v113, 0x3b15, -v188
	v_add_f16_e32 v38, v101, v39
	v_fmac_f16_e32 v102, 0xb3a8, v105
	v_add_f16_e32 v11, v15, v11
	v_fma_f16 v15, v113, 0xbbc4, -v40
	v_and_b32_e32 v34, 0xffff, v34
	v_add_f16_e64 v10, v131, v10
	v_add_f16_e64 v16, v144, v16
	;; [unrolled: 1-line block ×4, first 2 shown]
	v_add_f16_e32 v17, v36, v17
	v_add_f16_e32 v36, v102, v38
	;; [unrolled: 1-line block ×3, first 2 shown]
	v_lshlrev_b32_e32 v15, 2, v34
	v_pack_b32_f16 v8, v8, v12
	v_pack_b32_f16 v7, v7, v9
	;; [unrolled: 1-line block ×13, first 2 shown]
	ds_store_2addr_b32 v15, v7, v8 offset1:1
	ds_store_2addr_b32 v15, v12, v9 offset0:2 offset1:3
	ds_store_2addr_b32 v15, v38, v34 offset0:4 offset1:5
	;; [unrolled: 1-line block ×5, first 2 shown]
	ds_store_b32 v15, v11 offset:48
.LBB0_13:
	s_wait_alu 0xfffe
	s_or_b32 exec_lo, exec_lo, s0
	v_add_nc_u32_e32 v7, 0xd00, v33
	v_add_nc_u32_e32 v8, 0x600, v33
	;; [unrolled: 1-line block ×3, first 2 shown]
	global_wb scope:SCOPE_SE
	s_wait_dscnt 0x0
	s_barrier_signal -1
	s_barrier_wait -1
	global_inv scope:SCOPE_SE
	ds_load_2addr_b32 v[10:11], v33 offset1:208
	ds_load_2addr_b32 v[12:13], v7 offset1:208
	ds_load_2addr_b32 v[14:15], v8 offset0:32 offset1:240
	ds_load_2addr_b32 v[16:17], v9 offset0:32 offset1:240
	global_wb scope:SCOPE_SE
	s_wait_dscnt 0x0
	s_barrier_signal -1
	s_barrier_wait -1
	global_inv scope:SCOPE_SE
	v_lshrrev_b32_e32 v35, 16, v12
	v_lshrrev_b32_e32 v36, 16, v13
	;; [unrolled: 1-line block ×4, first 2 shown]
	v_mul_f16_e32 v93, v53, v12
	v_mul_f16_e32 v53, v53, v35
	;; [unrolled: 1-line block ×8, first 2 shown]
	v_lshrrev_b32_e32 v18, 16, v10
	v_fma_f16 v35, v41, v35, -v93
	v_fmac_f16_e32 v53, v41, v12
	v_lshrrev_b32_e32 v34, 16, v11
	v_fma_f16 v36, v42, v36, -v94
	v_fmac_f16_e32 v57, v42, v13
	;; [unrolled: 3-line block ×4, first 2 shown]
	v_sub_f16_e32 v12, v18, v35
	v_sub_f16_e32 v35, v10, v53
	v_sub_f16_e32 v13, v34, v36
	v_sub_f16_e32 v36, v11, v57
	v_sub_f16_e32 v16, v37, v38
	v_sub_f16_e32 v38, v14, v55
	v_sub_f16_e32 v17, v39, v40
	v_sub_f16_e32 v40, v15, v54
	v_fma_f16 v18, v18, 2.0, -v12
	v_fma_f16 v10, v10, 2.0, -v35
	;; [unrolled: 1-line block ×8, first 2 shown]
	v_pack_b32_f16 v10, v10, v18
	v_pack_b32_f16 v12, v35, v12
	;; [unrolled: 1-line block ×8, first 2 shown]
	ds_store_2addr_b32 v45, v10, v12 offset1:13
	ds_store_2addr_b32 v47, v11, v13 offset1:13
	;; [unrolled: 1-line block ×4, first 2 shown]
	global_wb scope:SCOPE_SE
	s_wait_dscnt 0x0
	s_barrier_signal -1
	s_barrier_wait -1
	global_inv scope:SCOPE_SE
	ds_load_2addr_b32 v[10:11], v7 offset1:208
	ds_load_2addr_b32 v[12:13], v33 offset1:208
	ds_load_2addr_b32 v[14:15], v8 offset0:32 offset1:240
	ds_load_2addr_b32 v[16:17], v9 offset0:32 offset1:240
	global_wb scope:SCOPE_SE
	s_wait_dscnt 0x0
	s_barrier_signal -1
	s_barrier_wait -1
	global_inv scope:SCOPE_SE
	v_lshrrev_b32_e32 v18, 16, v10
	v_lshrrev_b32_e32 v36, 16, v11
	v_mul_f16_e32 v42, v68, v10
	v_lshrrev_b32_e32 v39, 16, v16
	v_lshrrev_b32_e32 v41, 16, v17
	v_mul_f16_e32 v38, v68, v18
	v_mul_f16_e32 v43, v67, v11
	v_fma_f16 v18, v52, v18, -v42
	v_mul_f16_e32 v44, v64, v39
	v_mul_f16_e32 v42, v64, v16
	v_fmac_f16_e32 v38, v52, v10
	v_mul_f16_e32 v10, v67, v36
	v_lshrrev_b32_e32 v34, 16, v12
	v_fmac_f16_e32 v44, v50, v16
	v_mul_f16_e32 v16, v63, v41
	v_lshrrev_b32_e32 v35, 16, v13
	v_fmac_f16_e32 v10, v51, v11
	v_fma_f16 v11, v51, v36, -v43
	v_fma_f16 v36, v50, v39, -v42
	v_mul_f16_e32 v39, v63, v17
	v_lshrrev_b32_e32 v37, 16, v14
	v_lshrrev_b32_e32 v40, 16, v15
	v_fmac_f16_e32 v16, v46, v17
	v_sub_f16_e32 v38, v12, v38
	v_fma_f16 v17, v46, v41, -v39
	v_sub_f16_e32 v18, v34, v18
	v_sub_f16_e32 v10, v13, v10
	v_sub_f16_e32 v11, v35, v11
	v_sub_f16_e32 v39, v14, v44
	v_sub_f16_e32 v36, v37, v36
	v_sub_f16_e32 v16, v15, v16
	v_sub_f16_e32 v17, v40, v17
	v_fma_f16 v12, v12, 2.0, -v38
	v_fma_f16 v34, v34, 2.0, -v18
	;; [unrolled: 1-line block ×8, first 2 shown]
	v_pack_b32_f16 v12, v12, v34
	v_pack_b32_f16 v18, v38, v18
	;; [unrolled: 1-line block ×8, first 2 shown]
	ds_store_2addr_b32 v59, v12, v18 offset1:26
	ds_store_2addr_b32 v60, v13, v10 offset1:26
	;; [unrolled: 1-line block ×4, first 2 shown]
	global_wb scope:SCOPE_SE
	s_wait_dscnt 0x0
	s_barrier_signal -1
	s_barrier_wait -1
	global_inv scope:SCOPE_SE
	ds_load_2addr_b32 v[10:11], v33 offset1:208
	ds_load_2addr_b32 v[12:13], v8 offset0:32 offset1:240
	ds_load_2addr_b32 v[14:15], v7 offset1:208
	ds_load_2addr_b32 v[16:17], v9 offset0:32 offset1:240
	global_wb scope:SCOPE_SE
	s_wait_dscnt 0x0
	s_barrier_signal -1
	s_barrier_wait -1
	global_inv scope:SCOPE_SE
	v_lshrrev_b32_e32 v18, 16, v10
	v_lshrrev_b32_e32 v34, 16, v12
	;; [unrolled: 1-line block ×5, first 2 shown]
	v_mul_f16_e32 v41, v86, v12
	v_mul_f16_e32 v40, v86, v34
	;; [unrolled: 1-line block ×4, first 2 shown]
	v_lshrrev_b32_e32 v39, 16, v15
	v_lshrrev_b32_e32 v43, 16, v17
	v_fmac_f16_e32 v40, v3, v12
	v_fma_f16 v3, v3, v34, -v41
	v_fmac_f16_e32 v42, v4, v14
	v_mul_f16_e32 v12, v78, v36
	v_fma_f16 v4, v4, v35, -v44
	v_mul_f16_e32 v14, v78, v16
	v_mul_f16_e32 v34, v77, v38
	;; [unrolled: 1-line block ×3, first 2 shown]
	v_fmac_f16_e32 v12, v5, v16
	v_mul_f16_e32 v16, v75, v39
	v_fma_f16 v5, v5, v36, -v14
	v_fmac_f16_e32 v34, v0, v13
	v_fma_f16 v0, v0, v38, -v35
	v_mul_f16_e32 v14, v75, v15
	v_mul_f16_e32 v35, v74, v43
	;; [unrolled: 1-line block ×3, first 2 shown]
	v_lshrrev_b32_e32 v37, 16, v11
	v_fmac_f16_e32 v16, v1, v15
	v_fma_f16 v1, v1, v39, -v14
	v_fmac_f16_e32 v35, v2, v17
	v_fma_f16 v2, v2, v43, -v36
	v_sub_f16_e32 v13, v10, v42
	v_sub_f16_e32 v12, v40, v12
	;; [unrolled: 1-line block ×8, first 2 shown]
	v_fma_f16 v10, v10, 2.0, -v13
	v_fma_f16 v15, v40, 2.0, -v12
	;; [unrolled: 1-line block ×8, first 2 shown]
	v_sub_f16_e32 v15, v10, v15
	v_sub_f16_e32 v3, v18, v3
	v_add_f16_e32 v5, v13, v5
	v_sub_f16_e32 v12, v4, v12
	v_sub_f16_e32 v34, v11, v34
	;; [unrolled: 1-line block ×3, first 2 shown]
	v_add_f16_e32 v2, v14, v2
	v_sub_f16_e32 v16, v1, v16
	v_fma_f16 v10, v10, 2.0, -v15
	v_fma_f16 v18, v18, 2.0, -v3
	;; [unrolled: 1-line block ×8, first 2 shown]
	v_pack_b32_f16 v10, v10, v18
	v_pack_b32_f16 v4, v13, v4
	;; [unrolled: 1-line block ×8, first 2 shown]
	ds_store_2addr_b32 v65, v10, v4 offset1:52
	ds_store_2addr_b32 v65, v3, v5 offset0:104 offset1:156
	ds_store_2addr_b32 v66, v11, v1 offset1:52
	ds_store_2addr_b32 v66, v0, v2 offset0:104 offset1:156
	global_wb scope:SCOPE_SE
	s_wait_dscnt 0x0
	s_barrier_signal -1
	s_barrier_wait -1
	global_inv scope:SCOPE_SE
	ds_load_2addr_b32 v[0:1], v7 offset1:208
	ds_load_2addr_b32 v[2:3], v33 offset1:208
	ds_load_2addr_b32 v[4:5], v8 offset0:32 offset1:240
	ds_load_2addr_b32 v[10:11], v9 offset0:32 offset1:240
	global_wb scope:SCOPE_SE
	s_wait_dscnt 0x0
	s_barrier_signal -1
	s_barrier_wait -1
	global_inv scope:SCOPE_SE
	v_lshrrev_b32_e32 v12, 16, v0
	v_lshrrev_b32_e32 v15, 16, v1
	v_mul_f16_e32 v36, v81, v0
	v_lshrrev_b32_e32 v18, 16, v10
	v_lshrrev_b32_e32 v35, 16, v11
	v_mul_f16_e32 v17, v81, v12
	v_mul_f16_e32 v37, v81, v1
	v_fma_f16 v12, v71, v12, -v36
	v_mul_f16_e32 v38, v79, v18
	v_mul_f16_e32 v36, v79, v10
	v_fmac_f16_e32 v17, v71, v0
	v_mul_f16_e32 v0, v81, v15
	v_lshrrev_b32_e32 v13, 16, v2
	v_fmac_f16_e32 v38, v70, v10
	v_mul_f16_e32 v10, v76, v35
	v_lshrrev_b32_e32 v14, 16, v3
	v_fmac_f16_e32 v0, v71, v1
	v_fma_f16 v1, v71, v15, -v37
	v_fma_f16 v15, v70, v18, -v36
	v_mul_f16_e32 v18, v76, v11
	v_lshrrev_b32_e32 v16, 16, v4
	v_lshrrev_b32_e32 v34, 16, v5
	v_fmac_f16_e32 v10, v69, v11
	v_sub_f16_e32 v17, v2, v17
	v_fma_f16 v11, v69, v35, -v18
	v_sub_f16_e32 v12, v13, v12
	v_sub_f16_e32 v0, v3, v0
	;; [unrolled: 1-line block ×7, first 2 shown]
	v_fma_f16 v2, v2, 2.0, -v17
	v_fma_f16 v13, v13, 2.0, -v12
	v_fma_f16 v3, v3, 2.0, -v0
	v_fma_f16 v14, v14, 2.0, -v1
	v_fma_f16 v4, v4, 2.0, -v18
	v_fma_f16 v16, v16, 2.0, -v15
	v_fma_f16 v5, v5, 2.0, -v10
	v_fma_f16 v34, v34, 2.0, -v11
	v_pack_b32_f16 v2, v2, v13
	v_pack_b32_f16 v12, v17, v12
	;; [unrolled: 1-line block ×6, first 2 shown]
	v_add_nc_u32_e32 v13, 0xd00, v58
	v_pack_b32_f16 v5, v5, v34
	v_pack_b32_f16 v10, v10, v11
	v_add_nc_u32_e32 v11, 0x1300, v56
	ds_store_2addr_b32 v33, v2, v12 offset1:208
	ds_store_2addr_b32 v8, v3, v0 offset0:32 offset1:240
	ds_store_2addr_b32 v13, v1, v4 offset1:208
	ds_store_2addr_b32 v11, v5, v10 offset0:32 offset1:240
	global_wb scope:SCOPE_SE
	s_wait_dscnt 0x0
	s_barrier_signal -1
	s_barrier_wait -1
	global_inv scope:SCOPE_SE
	ds_load_2addr_b32 v[0:1], v7 offset1:208
	ds_load_2addr_b32 v[2:3], v33 offset1:208
	ds_load_2addr_b32 v[4:5], v8 offset0:32 offset1:240
	ds_load_2addr_b32 v[10:11], v9 offset0:32 offset1:240
	global_wb scope:SCOPE_SE
	s_wait_dscnt 0x0
	s_barrier_signal -1
	s_barrier_wait -1
	global_inv scope:SCOPE_SE
	v_lshrrev_b32_e32 v12, 16, v0
	v_lshrrev_b32_e32 v15, 16, v1
	v_mul_f16_e32 v36, v88, v0
	v_lshrrev_b32_e32 v18, 16, v10
	v_lshrrev_b32_e32 v35, 16, v11
	v_mul_f16_e32 v17, v88, v12
	v_mul_f16_e32 v37, v87, v1
	v_fma_f16 v12, v73, v12, -v36
	v_mul_f16_e32 v38, v88, v18
	v_mul_f16_e32 v36, v88, v10
	v_fmac_f16_e32 v17, v73, v0
	v_mul_f16_e32 v0, v87, v15
	v_lshrrev_b32_e32 v13, 16, v2
	v_fmac_f16_e32 v38, v73, v10
	v_mul_f16_e32 v10, v87, v35
	v_lshrrev_b32_e32 v14, 16, v3
	v_fmac_f16_e32 v0, v72, v1
	v_fma_f16 v1, v72, v15, -v37
	v_fma_f16 v15, v73, v18, -v36
	v_mul_f16_e32 v18, v87, v11
	v_lshrrev_b32_e32 v16, 16, v4
	v_lshrrev_b32_e32 v34, 16, v5
	v_fmac_f16_e32 v10, v72, v11
	v_sub_f16_e32 v17, v2, v17
	v_fma_f16 v11, v72, v35, -v18
	v_sub_f16_e32 v12, v13, v12
	v_sub_f16_e32 v0, v3, v0
	;; [unrolled: 1-line block ×7, first 2 shown]
	v_fma_f16 v2, v2, 2.0, -v17
	v_fma_f16 v13, v13, 2.0, -v12
	;; [unrolled: 1-line block ×8, first 2 shown]
	v_pack_b32_f16 v2, v2, v13
	v_pack_b32_f16 v3, v3, v14
	;; [unrolled: 1-line block ×8, first 2 shown]
	ds_store_2addr_b32 v33, v2, v3 offset1:208
	ds_store_2addr_b32 v8, v12, v0 offset0:32 offset1:240
	ds_store_2addr_b32 v7, v1, v5 offset1:208
	ds_store_2addr_b32 v9, v4, v10 offset0:32 offset1:240
	global_wb scope:SCOPE_SE
	s_wait_dscnt 0x0
	s_barrier_signal -1
	s_barrier_wait -1
	global_inv scope:SCOPE_SE
	ds_load_2addr_b32 v[0:1], v7 offset1:208
	ds_load_2addr_b32 v[2:3], v33 offset1:208
	ds_load_2addr_b32 v[4:5], v8 offset0:32 offset1:240
	ds_load_2addr_b32 v[10:11], v9 offset0:32 offset1:240
	s_wait_dscnt 0x3
	v_lshrrev_b32_e32 v12, 16, v0
	v_lshrrev_b32_e32 v15, 16, v1
	v_mul_f16_e32 v36, v92, v0
	s_wait_dscnt 0x0
	v_lshrrev_b32_e32 v18, 16, v10
	v_lshrrev_b32_e32 v35, 16, v11
	v_mul_f16_e32 v17, v92, v12
	v_mul_f16_e32 v37, v91, v1
	v_fma_f16 v12, v80, v12, -v36
	v_mul_f16_e32 v38, v90, v18
	v_mul_f16_e32 v36, v90, v10
	v_fmac_f16_e32 v17, v80, v0
	v_mul_f16_e32 v0, v91, v15
	v_lshrrev_b32_e32 v13, 16, v2
	v_fmac_f16_e32 v38, v85, v10
	v_mul_f16_e32 v10, v89, v35
	v_lshrrev_b32_e32 v14, 16, v3
	v_fmac_f16_e32 v0, v83, v1
	v_fma_f16 v1, v83, v15, -v37
	v_fma_f16 v15, v85, v18, -v36
	v_mul_f16_e32 v18, v89, v11
	v_lshrrev_b32_e32 v16, 16, v4
	v_lshrrev_b32_e32 v34, 16, v5
	v_fmac_f16_e32 v10, v82, v11
	v_sub_f16_e32 v17, v2, v17
	v_fma_f16 v11, v82, v35, -v18
	v_sub_f16_e32 v12, v13, v12
	v_sub_f16_e32 v0, v3, v0
	;; [unrolled: 1-line block ×7, first 2 shown]
	v_fma_f16 v2, v2, 2.0, -v17
	v_fma_f16 v13, v13, 2.0, -v12
	;; [unrolled: 1-line block ×8, first 2 shown]
	v_pack_b32_f16 v2, v2, v13
	v_pack_b32_f16 v3, v3, v14
	;; [unrolled: 1-line block ×8, first 2 shown]
	ds_store_2addr_b32 v33, v2, v3 offset1:208
	ds_store_2addr_b32 v7, v12, v0 offset1:208
	ds_store_2addr_b32 v8, v1, v5 offset0:32 offset1:240
	ds_store_2addr_b32 v9, v4, v10 offset0:32 offset1:240
	global_wb scope:SCOPE_SE
	s_wait_dscnt 0x0
	s_barrier_signal -1
	s_barrier_wait -1
	global_inv scope:SCOPE_SE
	s_and_b32 exec_lo, exec_lo, vcc_lo
	s_cbranch_execz .LBB0_15
; %bb.14:
	s_clause 0x6
	global_load_b32 v2, v23, s[24:25]
	global_load_b32 v3, v23, s[24:25] offset:512
	global_load_b32 v4, v23, s[24:25] offset:1024
	;; [unrolled: 1-line block ×6, first 2 shown]
	ds_load_2addr_stride64_b32 v[16:17], v23 offset0:2 offset1:4
	ds_load_b32 v43, v33
	v_mad_co_u64_u32 v[12:13], null, s22, v6, 0
	v_mad_co_u64_u32 v[14:15], null, s20, v29, 0
	;; [unrolled: 1-line block ×5, first 2 shown]
	ds_load_2addr_stride64_b32 v[37:38], v23 offset0:6 offset1:8
	ds_load_2addr_stride64_b32 v[0:1], v23 offset0:10 offset1:12
	v_mov_b32_e32 v18, v34
	s_mov_b32 s26, 0x13b13b14
	v_mov_b32_e32 v34, v36
	s_mov_b32 s27, 0x3f43b13b
	v_mov_b32_e32 v36, v40
	v_mad_co_u64_u32 v[40:41], null, s23, v6, v[13:14]
	s_wait_dscnt 0x3
	v_mad_co_u64_u32 v[41:42], null, s21, v29, v[15:16]
	s_wait_dscnt 0x2
	v_lshrrev_b32_e32 v6, 16, v43
	s_clause 0x2
	global_load_b32 v8, v23, s[24:25] offset:3584
	global_load_b32 v5, v23, s[24:25] offset:4096
	global_load_b32 v7, v23, s[24:25] offset:4608
	v_mov_b32_e32 v13, v40
	v_mad_co_u64_u32 v[29:30], null, s21, v30, v[18:19]
	v_mov_b32_e32 v15, v41
	v_mad_co_u64_u32 v[30:31], null, s21, v31, v[34:35]
	v_lshrrev_b32_e32 v18, 16, v16
	s_wait_dscnt 0x1
	v_mad_co_u64_u32 v[31:32], null, s21, v32, v[36:37]
	v_mov_b32_e32 v34, v29
	v_lshrrev_b32_e32 v32, 16, v17
	v_lshrrev_b32_e32 v48, 16, v37
	v_mov_b32_e32 v36, v30
	v_lshrrev_b32_e32 v49, 16, v38
	s_wait_dscnt 0x0
	v_lshrrev_b32_e32 v50, 16, v0
	v_lshlrev_b64_e32 v[12:13], 2, v[12:13]
	v_lshrrev_b32_e32 v55, 16, v1
	s_wait_loadcnt 0x9
	v_lshrrev_b32_e32 v40, 16, v2
	s_wait_loadcnt 0x8
	;; [unrolled: 2-line block ×5, first 2 shown]
	v_lshrrev_b32_e32 v44, 16, v11
	v_mul_f16_e32 v41, v6, v40
	v_mul_f16_e32 v40, v43, v40
	;; [unrolled: 1-line block ×3, first 2 shown]
	s_wait_loadcnt 0x4
	v_lshrrev_b32_e32 v51, 16, v47
	v_fmac_f16_e32 v41, v43, v2
	v_mul_f16_e32 v43, v18, v29
	v_mul_f16_e32 v29, v16, v29
	v_fma_f16 v2, v2, v6, -v40
	v_mul_f16_e32 v40, v17, v30
	v_cvt_f32_f16_e32 v6, v41
	v_fmac_f16_e32 v43, v16, v3
	v_fma_f16 v18, v3, v18, -v29
	v_cvt_f32_f16_e32 v16, v2
	v_fmac_f16_e32 v45, v17, v4
	v_cvt_f64_f32_e32 v[2:3], v6
	v_cvt_f32_f16_e32 v6, v43
	v_mul_f16_e32 v43, v48, v42
	v_cvt_f32_f16_e32 v18, v18
	v_fma_f16 v4, v4, v32, -v40
	v_cvt_f32_f16_e32 v32, v45
	v_cvt_f64_f32_e32 v[29:30], v6
	v_fmac_f16_e32 v43, v37, v10
	v_mul_f16_e32 v6, v37, v42
	v_cvt_f64_f32_e32 v[41:42], v18
	v_mul_f16_e32 v18, v49, v44
	v_mul_f16_e32 v40, v38, v44
	v_cvt_f32_f16_e32 v37, v43
	v_cvt_f64_f32_e32 v[43:44], v32
	v_cvt_f32_f16_e32 v4, v4
	v_cvt_f64_f32_e32 v[16:17], v16
	v_fma_f16 v32, v11, v49, -v40
	v_fmac_f16_e32 v18, v38, v11
	v_mov_b32_e32 v40, v31
	v_cvt_f64_f32_e32 v[45:46], v4
	v_fma_f16 v4, v10, v48, -v6
	v_mul_f16_e32 v6, v50, v51
	v_mul_f16_e32 v10, v0, v51
	v_cvt_f64_f32_e32 v[37:38], v37
	v_cvt_f32_f16_e32 v18, v18
	v_cvt_f32_f16_e32 v4, v4
	v_fmac_f16_e32 v6, v0, v47
	v_fma_f16 v0, v47, v50, -v10
	s_delay_alu instid0(VALU_DEP_4) | instskip(NEXT) | instid1(VALU_DEP_4)
	v_cvt_f64_f32_e32 v[47:48], v18
	v_cvt_f64_f32_e32 v[10:11], v4
	v_cvt_f32_f16_e32 v4, v32
	s_delay_alu instid0(VALU_DEP_4)
	v_cvt_f32_f16_e32 v0, v0
	v_cvt_f32_f16_e32 v6, v6
	s_wait_loadcnt 0x3
	v_lshrrev_b32_e32 v18, 16, v9
	v_cvt_f64_f32_e32 v[31:32], v4
	v_cvt_f64_f32_e32 v[51:52], v0
	v_add_co_u32 v0, vcc_lo, s8, v12
	v_add_co_ci_u32_e32 v4, vcc_lo, s9, v13, vcc_lo
	v_cvt_f64_f32_e32 v[49:50], v6
	v_mul_f64_e32 v[53:54], s[26:27], v[2:3]
	v_mul_f64_e32 v[29:30], s[26:27], v[29:30]
	v_lshlrev_b64_e32 v[2:3], 2, v[14:15]
	v_mul_f16_e32 v6, v55, v18
	v_mul_f64_e32 v[12:13], s[26:27], v[41:42]
	v_mul_f64_e32 v[41:42], s[26:27], v[43:44]
	s_delay_alu instid0(VALU_DEP_3) | instskip(SKIP_3) | instid1(VALU_DEP_4)
	v_fmac_f16_e32 v6, v1, v9
	v_mul_f64_e32 v[16:17], s[26:27], v[16:17]
	v_mul_f16_e32 v1, v1, v18
	v_mul_f64_e32 v[43:44], s[26:27], v[45:46]
	v_cvt_f32_f16_e32 v6, v6
	s_delay_alu instid0(VALU_DEP_3) | instskip(SKIP_1) | instid1(VALU_DEP_2)
	v_fma_f16 v1, v9, v55, -v1
	v_mul_f64_e32 v[37:38], s[26:27], v[37:38]
	v_cvt_f32_f16_e32 v1, v1
	v_mul_f64_e32 v[45:46], s[26:27], v[47:48]
	v_mul_f64_e32 v[10:11], s[26:27], v[10:11]
	v_mul_f64_e32 v[31:32], s[26:27], v[31:32]
	v_mul_f64_e32 v[47:48], s[26:27], v[49:50]
	v_and_or_b32 v49, 0x1ff, v54, v53
	v_bfe_u32 v57, v30, 20, 11
	v_and_or_b32 v29, 0x1ff, v30, v29
	v_lshrrev_b32_e32 v50, 8, v54
	v_bfe_u32 v59, v13, 20, 11
	v_and_or_b32 v12, 0x1ff, v13, v12
	v_sub_nc_u32_e32 v76, 0x3f1, v57
	v_add_nc_u32_e32 v57, 0xfffffc10, v57
	v_bfe_u32 v61, v42, 20, 11
	v_lshlrev_b64_e32 v[14:15], 2, v[33:34]
	v_sub_nc_u32_e32 v77, 0x3f1, v59
	v_add_nc_u32_e32 v59, 0xfffffc10, v59
	v_lshlrev_b64_e32 v[33:34], 2, v[35:36]
	v_sub_nc_u32_e32 v78, 0x3f1, v61
	v_add_nc_u32_e32 v61, 0xfffffc10, v61
	v_lshlrev_b64_e32 v[35:36], 2, v[39:40]
	v_add_co_u32 v39, vcc_lo, v0, v2
	s_wait_alu 0xfffd
	v_add_co_ci_u32_e32 v40, vcc_lo, v4, v3, vcc_lo
	v_add_co_u32 v14, vcc_lo, v0, v14
	s_wait_alu 0xfffd
	v_add_co_ci_u32_e32 v15, vcc_lo, v4, v15, vcc_lo
	v_add_co_u32 v33, vcc_lo, v0, v33
	s_wait_alu 0xfffd
	v_add_co_ci_u32_e32 v34, vcc_lo, v4, v34, vcc_lo
	v_add_co_u32 v35, vcc_lo, v0, v35
	s_wait_alu 0xfffd
	v_add_co_ci_u32_e32 v36, vcc_lo, v4, v36, vcc_lo
	v_and_or_b32 v16, 0x1ff, v17, v16
	v_cmp_ne_u32_e32 vcc_lo, 0, v49
	v_and_or_b32 v41, 0x1ff, v42, v41
	v_and_or_b32 v43, 0x1ff, v44, v43
	;; [unrolled: 1-line block ×4, first 2 shown]
	s_wait_alu 0xfffd
	v_cndmask_b32_e64 v49, 0, 1, vcc_lo
	v_cmp_ne_u32_e32 vcc_lo, 0, v16
	v_and_or_b32 v45, 0x1ff, v46, v45
	v_and_or_b32 v31, 0x1ff, v32, v31
	;; [unrolled: 1-line block ×3, first 2 shown]
	v_mul_f64_e32 v[2:3], s[26:27], v[51:52]
	s_wait_alu 0xfffd
	v_cndmask_b32_e64 v16, 0, 1, vcc_lo
	v_cmp_ne_u32_e32 vcc_lo, 0, v29
	v_bfe_u32 v51, v54, 20, 11
	v_lshrrev_b32_e32 v52, 16, v54
	v_lshrrev_b32_e32 v53, 8, v17
	v_bfe_u32 v54, v17, 20, 11
	s_wait_alu 0xfffd
	v_cndmask_b32_e64 v29, 0, 1, vcc_lo
	v_cmp_ne_u32_e32 vcc_lo, 0, v12
	v_and_or_b32 v49, 0xffe, v50, v49
	v_lshrrev_b32_e32 v56, 8, v30
	v_sub_nc_u32_e32 v74, 0x3f1, v51
	v_add_nc_u32_e32 v51, 0xfffffc10, v51
	s_wait_alu 0xfffd
	v_cndmask_b32_e64 v12, 0, 1, vcc_lo
	v_cmp_ne_u32_e32 vcc_lo, 0, v41
	v_sub_nc_u32_e32 v75, 0x3f1, v54
	v_and_or_b32 v16, 0xffe, v53, v16
	v_lshrrev_b32_e32 v58, 8, v13
	v_bfe_u32 v63, v44, 20, 11
	s_wait_alu 0xfffd
	v_cndmask_b32_e64 v41, 0, 1, vcc_lo
	v_cmp_ne_u32_e32 vcc_lo, 0, v43
	v_add_nc_u32_e32 v54, 0xfffffc10, v54
	v_med3_i32 v50, v74, 0, 13
	v_med3_i32 v53, v75, 0, 13
	v_and_or_b32 v29, 0xffe, v56, v29
	s_wait_alu 0xfffd
	v_cndmask_b32_e64 v43, 0, 1, vcc_lo
	v_cmp_ne_u32_e32 vcc_lo, 0, v37
	v_or_b32_e32 v74, 0x1000, v49
	v_lshl_or_b32 v75, v51, 12, v49
	v_lshrrev_b32_e32 v60, 8, v42
	v_lshrrev_b32_e32 v62, 8, v44
	s_wait_alu 0xfffd
	v_cndmask_b32_e64 v37, 0, 1, vcc_lo
	v_cmp_ne_u32_e32 vcc_lo, 0, v10
	v_bfe_u32 v65, v38, 20, 11
	v_bfe_u32 v67, v11, 20, 11
	v_sub_nc_u32_e32 v79, 0x3f1, v63
	v_med3_i32 v56, v76, 0, 13
	s_wait_alu 0xfffd
	v_cndmask_b32_e64 v10, 0, 1, vcc_lo
	v_cmp_ne_u32_e32 vcc_lo, 0, v45
	v_and_or_b32 v12, 0xffe, v58, v12
	v_med3_i32 v58, v77, 0, 13
	v_or_b32_e32 v76, 0x1000, v16
	v_lshl_or_b32 v77, v54, 12, v16
	s_wait_alu 0xfffd
	v_cndmask_b32_e64 v45, 0, 1, vcc_lo
	v_cmp_ne_u32_e32 vcc_lo, 0, v31
	v_lshrrev_b32_e32 v64, 8, v38
	v_lshrrev_b32_e32 v66, 8, v11
	v_bfe_u32 v69, v46, 20, 11
	v_bfe_u32 v71, v32, 20, 11
	s_wait_alu 0xfffd
	v_cndmask_b32_e64 v31, 0, 1, vcc_lo
	v_cmp_ne_u32_e32 vcc_lo, 0, v47
	v_sub_nc_u32_e32 v80, 0x3f1, v65
	v_sub_nc_u32_e32 v81, 0x3f1, v67
	v_and_or_b32 v41, 0xffe, v60, v41
	v_med3_i32 v60, v78, 0, 13
	s_wait_alu 0xfffd
	v_cndmask_b32_e64 v47, 0, 1, vcc_lo
	v_cmp_ne_u32_e32 vcc_lo, 0, v49
	v_and_or_b32 v43, 0xffe, v62, v43
	v_med3_i32 v62, v79, 0, 13
	v_or_b32_e32 v78, 0x1000, v29
	v_lshl_or_b32 v79, v57, 12, v29
	s_wait_alu 0xfffd
	v_cndmask_b32_e64 v49, 0, 1, vcc_lo
	v_cmp_ne_u32_e32 vcc_lo, 0, v16
	v_lshrrev_b32_e32 v68, 8, v46
	v_lshrrev_b32_e32 v70, 8, v32
	v_sub_nc_u32_e32 v82, 0x3f1, v69
	v_sub_nc_u32_e32 v83, 0x3f1, v71
	s_wait_alu 0xfffd
	v_cndmask_b32_e64 v16, 0, 1, vcc_lo
	v_cmp_ne_u32_e32 vcc_lo, 0, v29
	v_and_or_b32 v37, 0xffe, v64, v37
	v_med3_i32 v64, v80, 0, 13
	v_and_or_b32 v10, 0xffe, v66, v10
	v_med3_i32 v66, v81, 0, 13
	s_wait_alu 0xfffd
	v_cndmask_b32_e64 v29, 0, 1, vcc_lo
	v_cmp_ne_u32_e32 vcc_lo, 0, v12
	v_or_b32_e32 v80, 0x1000, v12
	v_lshl_or_b32 v81, v59, 12, v12
	v_add_nc_u32_e32 v63, 0xfffffc10, v63
	v_and_or_b32 v45, 0xffe, v68, v45
	s_wait_alu 0xfffd
	v_cndmask_b32_e64 v12, 0, 1, vcc_lo
	v_cmp_ne_u32_e32 vcc_lo, 0, v41
	v_med3_i32 v68, v82, 0, 13
	v_and_or_b32 v31, 0xffe, v70, v31
	v_med3_i32 v70, v83, 0, 13
	v_or_b32_e32 v82, 0x1000, v41
	v_lshl_or_b32 v83, v61, 12, v41
	s_wait_alu 0xfffd
	v_cndmask_b32_e64 v41, 0, 1, vcc_lo
	v_cmp_ne_u32_e32 vcc_lo, 0, v43
	v_add_nc_u32_e32 v65, 0xfffffc10, v65
	v_or_b32_e32 v84, 0x1000, v43
	v_lshl_or_b32 v85, v63, 12, v43
	v_add_nc_u32_e32 v67, 0xfffffc10, v67
	s_wait_alu 0xfffd
	v_cndmask_b32_e64 v43, 0, 1, vcc_lo
	v_cmp_ne_u32_e32 vcc_lo, 0, v37
	v_or_b32_e32 v86, 0x1000, v37
	v_lshl_or_b32 v87, v65, 12, v37
	v_lshrrev_b32_e32 v94, v50, v74
	v_add_nc_u32_e32 v69, 0xfffffc10, v69
	s_wait_alu 0xfffd
	v_cndmask_b32_e64 v37, 0, 1, vcc_lo
	v_cmp_ne_u32_e32 vcc_lo, 0, v10
	v_or_b32_e32 v88, 0x1000, v10
	v_lshl_or_b32 v89, v67, 12, v10
	v_lshrrev_b32_e32 v95, v53, v76
	v_lshlrev_b32_e32 v50, v50, v94
	s_wait_alu 0xfffd
	v_cndmask_b32_e64 v10, 0, 1, vcc_lo
	v_cmp_ne_u32_e32 vcc_lo, 0, v45
	v_or_b32_e32 v90, 0x1000, v45
	v_lshl_or_b32 v91, v69, 12, v45
	v_lshrrev_b32_e32 v96, v56, v78
	v_lshlrev_b32_e32 v53, v53, v95
	s_wait_alu 0xfffd
	v_cndmask_b32_e64 v45, 0, 1, vcc_lo
	v_cmp_ne_u32_e32 vcc_lo, v50, v74
	v_lshl_or_b32 v49, v49, 9, 0x7c00
	v_lshrrev_b32_e32 v97, v58, v80
	v_lshlrev_b32_e32 v56, v56, v96
	v_lshrrev_b32_e32 v98, v60, v82
	s_wait_alu 0xfffd
	v_cndmask_b32_e64 v50, 0, 1, vcc_lo
	v_cmp_ne_u32_e32 vcc_lo, v53, v76
	v_lshlrev_b32_e32 v58, v58, v97
	v_lshrrev_b32_e32 v99, v62, v84
	v_lshl_or_b32 v43, v43, 9, 0x7c00
	v_lshlrev_b32_e32 v60, v60, v98
	s_wait_alu 0xfffd
	v_cndmask_b32_e64 v53, 0, 1, vcc_lo
	v_cmp_ne_u32_e32 vcc_lo, v56, v78
	v_lshl_or_b32 v29, v29, 9, 0x7c00
	v_lshrrev_b32_e32 v100, v64, v86
	v_lshlrev_b32_e32 v62, v62, v99
	v_lshrrev_b32_e32 v101, v66, v88
	s_wait_alu 0xfffd
	v_cndmask_b32_e64 v56, 0, 1, vcc_lo
	v_cmp_ne_u32_e32 vcc_lo, v58, v80
	v_lshlrev_b32_e32 v64, v64, v100
	v_or_b32_e32 v92, 0x1000, v31
	v_lshrrev_b32_e32 v102, v68, v90
	v_lshlrev_b32_e32 v66, v66, v101
	s_wait_alu 0xfffd
	v_cndmask_b32_e64 v58, 0, 1, vcc_lo
	v_cmp_ne_u32_e32 vcc_lo, v60, v82
	v_lshrrev_b32_e32 v103, v70, v92
	v_lshlrev_b32_e32 v68, v68, v102
	v_lshl_or_b32 v41, v41, 9, 0x7c00
	v_or_b32_e32 v50, v94, v50
	s_wait_alu 0xfffd
	v_cndmask_b32_e64 v60, 0, 1, vcc_lo
	v_cmp_ne_u32_e32 vcc_lo, v62, v84
	v_lshlrev_b32_e32 v70, v70, v103
	v_or_b32_e32 v53, v95, v53
	v_or_b32_e32 v56, v96, v56
	;; [unrolled: 1-line block ×3, first 2 shown]
	s_wait_alu 0xfffd
	v_cndmask_b32_e64 v62, 0, 1, vcc_lo
	v_cmp_ne_u32_e32 vcc_lo, v64, v86
	v_or_b32_e32 v60, v98, v60
	v_lshl_or_b32 v45, v45, 9, 0x7c00
	v_lshl_or_b32 v37, v37, 9, 0x7c00
	v_or_b32_e32 v62, v99, v62
	s_wait_alu 0xfffd
	v_cndmask_b32_e64 v64, 0, 1, vcc_lo
	v_cmp_ne_u32_e32 vcc_lo, v66, v88
	v_bfe_u32 v18, v3, 20, 11
	v_lshl_or_b32 v16, v16, 9, 0x7c00
	v_lshl_or_b32 v12, v12, 9, 0x7c00
	v_or_b32_e32 v64, v100, v64
	s_wait_alu 0xfffd
	v_cndmask_b32_e64 v66, 0, 1, vcc_lo
	v_cmp_ne_u32_e32 vcc_lo, v68, v90
	v_sub_nc_u32_e32 v9, 0x3f1, v18
	v_lshl_or_b32 v10, v10, 9, 0x7c00
	v_lshrrev_b32_e32 v17, 16, v17
	v_or_b32_e32 v66, v101, v66
	s_wait_alu 0xfffd
	v_cndmask_b32_e64 v68, 0, 1, vcc_lo
	v_cmp_ne_u32_e32 vcc_lo, v70, v92
	v_med3_i32 v9, v9, 0, 13
	v_lshrrev_b32_e32 v30, 16, v30
	v_lshrrev_b32_e32 v11, 16, v11
	v_or_b32_e32 v68, v102, v68
	s_wait_alu 0xfffd
	v_cndmask_b32_e64 v70, 0, 1, vcc_lo
	v_cmp_gt_i32_e32 vcc_lo, 1, v51
	v_lshrrev_b32_e32 v13, 16, v13
	v_lshrrev_b32_e32 v42, 16, v42
	v_lshrrev_b32_e32 v38, 16, v38
	v_or_b32_e32 v70, v103, v70
	s_wait_alu 0xfffd
	v_cndmask_b32_e32 v50, v75, v50, vcc_lo
	v_cmp_gt_i32_e32 vcc_lo, 1, v54
	v_lshrrev_b32_e32 v44, 16, v44
	v_lshrrev_b32_e32 v72, 8, v48
	v_bfe_u32 v73, v48, 20, 11
	s_wait_alu 0xfffd
	v_dual_cndmask_b32 v53, v77, v53 :: v_dual_and_b32 v74, 7, v50
	v_cmp_gt_i32_e32 vcc_lo, 1, v57
	v_lshrrev_b32_e32 v50, 2, v50
	v_lshrrev_b32_e32 v46, 16, v46
	s_delay_alu instid0(VALU_DEP_4)
	v_cmp_eq_u32_e64 s0, 3, v74
	s_wait_alu 0xfffd
	v_dual_cndmask_b32 v56, v79, v56 :: v_dual_and_b32 v75, 7, v53
	v_cmp_gt_i32_e32 vcc_lo, 1, v59
	v_lshrrev_b32_e32 v53, 2, v53
	v_and_or_b32 v2, 0x1ff, v3, v2
	s_delay_alu instid0(VALU_DEP_4)
	v_cmp_lt_i32_e64 s1, 5, v75
	v_and_b32_e32 v76, 7, v56
	s_wait_alu 0xfffd
	v_cndmask_b32_e32 v58, v81, v58, vcc_lo
	v_cmp_gt_i32_e32 vcc_lo, 1, v61
	v_cmp_eq_u32_e64 s2, 3, v75
	v_lshrrev_b32_e32 v56, 2, v56
	v_cmp_lt_i32_e64 s3, 5, v76
	v_cmp_eq_u32_e64 s4, 3, v76
	s_wait_alu 0xfffd
	v_cndmask_b32_e32 v60, v83, v60, vcc_lo
	v_cmp_gt_i32_e32 vcc_lo, 1, v63
	v_add_nc_u32_e32 v71, 0xfffffc10, v71
	v_and_b32_e32 v77, 7, v58
	v_lshrrev_b32_e32 v58, 2, v58
	v_and_b32_e32 v78, 7, v60
	s_wait_alu 0xfffd
	v_cndmask_b32_e32 v62, v85, v62, vcc_lo
	v_cmp_gt_i32_e32 vcc_lo, 1, v65
	v_lshl_or_b32 v93, v71, 12, v31
	v_cmp_lt_i32_e64 s5, 5, v77
	v_cmp_eq_u32_e64 s6, 3, v77
	v_cmp_lt_i32_e64 s7, 5, v78
	s_wait_alu 0xfffd
	v_cndmask_b32_e32 v64, v87, v64, vcc_lo
	v_cmp_gt_i32_e32 vcc_lo, 1, v67
	v_cmp_eq_u32_e64 s8, 3, v78
	v_lshrrev_b32_e32 v60, 2, v60
	v_lshrrev_b32_e32 v32, 16, v32
	v_and_b32_e32 v80, 7, v64
	s_wait_alu 0xfffd
	v_cndmask_b32_e32 v66, v89, v66, vcc_lo
	v_cmp_gt_i32_e32 vcc_lo, 1, v69
	v_lshrrev_b32_e32 v64, 2, v64
	v_cmp_lt_i32_e64 s11, 5, v80
	v_cmp_eq_u32_e64 s12, 3, v80
	s_wait_alu 0xfffd
	v_cndmask_b32_e32 v68, v91, v68, vcc_lo
	v_cmp_gt_i32_e32 vcc_lo, 1, v71
	s_delay_alu instid0(VALU_DEP_2)
	v_and_b32_e32 v82, 7, v68
	s_wait_alu 0xfffd
	v_cndmask_b32_e32 v70, v93, v70, vcc_lo
	v_cmp_lt_i32_e32 vcc_lo, 5, v74
	v_lshrrev_b32_e32 v68, 2, v68
	v_cmp_lt_i32_e64 s15, 5, v82
	v_cmp_eq_u32_e64 s16, 3, v82
	s_or_b32 vcc_lo, s0, vcc_lo
	s_wait_alu 0xfffe
	v_add_co_ci_u32_e32 v50, vcc_lo, 0, v50, vcc_lo
	s_or_b32 vcc_lo, s2, s1
	s_wait_alu 0xfffe
	v_add_co_ci_u32_e32 v53, vcc_lo, 0, v53, vcc_lo
	s_or_b32 vcc_lo, s4, s3
	s_wait_alu 0xfffe
	v_add_co_ci_u32_e32 v56, vcc_lo, 0, v56, vcc_lo
	v_and_b32_e32 v79, 7, v62
	s_or_b32 vcc_lo, s6, s5
	v_lshrrev_b32_e32 v62, 2, v62
	s_wait_alu 0xfffe
	v_add_co_ci_u32_e32 v58, vcc_lo, 0, v58, vcc_lo
	v_cmp_lt_i32_e64 s9, 5, v79
	v_cmp_eq_u32_e64 s10, 3, v79
	s_or_b32 vcc_lo, s8, s7
	s_wait_alu 0xfffe
	v_add_co_ci_u32_e32 v60, vcc_lo, 0, v60, vcc_lo
	v_and_b32_e32 v81, 7, v66
	s_or_b32 vcc_lo, s10, s9
	v_lshrrev_b32_e32 v66, 2, v66
	s_wait_alu 0xfffe
	v_add_co_ci_u32_e32 v62, vcc_lo, 0, v62, vcc_lo
	s_or_b32 vcc_lo, s12, s11
	v_cmp_lt_i32_e64 s13, 5, v81
	v_cmp_eq_u32_e64 s14, 3, v81
	s_wait_alu 0xfffe
	v_add_co_ci_u32_e32 v64, vcc_lo, 0, v64, vcc_lo
	v_and_b32_e32 v83, 7, v70
	v_lshrrev_b32_e32 v70, 2, v70
	s_or_b32 vcc_lo, s14, s13
	s_wait_alu 0xfffe
	v_add_co_ci_u32_e32 v66, vcc_lo, 0, v66, vcc_lo
	v_cmp_lt_i32_e64 s17, 5, v83
	v_cmp_eq_u32_e64 s18, 3, v83
	s_or_b32 vcc_lo, s16, s15
	s_wait_alu 0xfffe
	v_add_co_ci_u32_e32 v68, vcc_lo, 0, v68, vcc_lo
	s_delay_alu instid0(VALU_DEP_2)
	s_or_b32 vcc_lo, s18, s17
	s_wait_alu 0xfffe
	v_add_co_ci_u32_e32 v70, vcc_lo, 0, v70, vcc_lo
	v_cmp_gt_i32_e32 vcc_lo, 31, v51
	s_wait_alu 0xfffd
	v_cndmask_b32_e32 v50, 0x7c00, v50, vcc_lo
	v_cmp_gt_i32_e32 vcc_lo, 31, v54
	s_wait_alu 0xfffd
	v_cndmask_b32_e32 v53, 0x7c00, v53, vcc_lo
	;; [unrolled: 3-line block ×10, first 2 shown]
	v_cmp_eq_u32_e32 vcc_lo, 0x40f, v51
	s_wait_alu 0xfffd
	v_cndmask_b32_e32 v49, v50, v49, vcc_lo
	v_cmp_eq_u32_e32 vcc_lo, 0x40f, v54
	s_delay_alu instid0(VALU_DEP_2)
	v_and_or_b32 v49, 0x8000, v52, v49
	s_wait_alu 0xfffd
	v_cndmask_b32_e32 v16, v53, v16, vcc_lo
	v_cmp_eq_u32_e32 vcc_lo, 0x40f, v57
	s_wait_alu 0xfffd
	v_cndmask_b32_e32 v29, v56, v29, vcc_lo
	v_cmp_eq_u32_e32 vcc_lo, 0x40f, v59
	;; [unrolled: 3-line block ×7, first 2 shown]
	s_delay_alu instid0(VALU_DEP_2)
	v_and_or_b32 v10, 0x8000, v11, v10
	v_and_b32_e32 v11, 0xffff, v49
	v_and_or_b32 v16, 0x8000, v17, v16
	v_and_or_b32 v17, 0x8000, v30, v29
	;; [unrolled: 1-line block ×4, first 2 shown]
	s_wait_alu 0xfffd
	v_cndmask_b32_e32 v37, v68, v45, vcc_lo
	v_lshl_or_b32 v11, v16, 16, v11
	v_and_b32_e32 v17, 0xffff, v17
	v_and_or_b32 v12, 0x8000, v13, v12
	v_and_or_b32 v13, 0x8000, v42, v41
	v_and_b32_e32 v30, 0xffff, v30
	v_cmp_ne_u32_e32 vcc_lo, 0, v31
	s_delay_alu instid0(VALU_DEP_4) | instskip(NEXT) | instid1(VALU_DEP_4)
	v_lshl_or_b32 v12, v12, 16, v17
	v_and_b32_e32 v13, 0xffff, v13
	s_delay_alu instid0(VALU_DEP_4) | instskip(SKIP_1) | instid1(VALU_DEP_3)
	v_lshl_or_b32 v10, v10, 16, v30
	v_and_or_b32 v17, 0x8000, v46, v37
	v_lshl_or_b32 v13, v29, 16, v13
	s_clause 0x3
	global_store_b32 v[39:40], v11, off
	global_store_b32 v[14:15], v12, off
	global_store_b32 v[33:34], v13, off
	global_store_b32 v[35:36], v10, off
	s_wait_alu 0xfffd
	v_cndmask_b32_e64 v12, 0, 1, vcc_lo
	v_and_or_b32 v29, 0xffe, v72, v47
	v_sub_nc_u32_e32 v13, 0x3f1, v73
	v_mad_co_u64_u32 v[10:11], null, s20, v28, 0
	s_delay_alu instid0(VALU_DEP_4) | instskip(NEXT) | instid1(VALU_DEP_4)
	v_lshl_or_b32 v12, v12, 9, 0x7c00
	v_or_b32_e32 v16, 0x1000, v29
	s_delay_alu instid0(VALU_DEP_4)
	v_med3_i32 v30, v13, 0, 13
	v_cmp_eq_u32_e32 vcc_lo, 0x40f, v71
	v_and_b32_e32 v17, 0xffff, v17
	s_wait_alu 0xfffd
	v_cndmask_b32_e32 v31, v70, v12, vcc_lo
	v_cvt_f64_f32_e32 v[12:13], v6
	v_mov_b32_e32 v6, v11
	v_lshrrev_b32_e32 v11, v30, v16
	v_cmp_ne_u32_e32 vcc_lo, 0, v2
	s_wait_loadcnt 0x0
	s_delay_alu instid0(VALU_DEP_3) | instskip(NEXT) | instid1(VALU_DEP_3)
	v_mad_co_u64_u32 v[14:15], null, s21, v28, v[6:7]
	v_lshlrev_b32_e32 v6, v30, v11
	s_wait_alu 0xfffd
	v_cndmask_b32_e64 v2, 0, 1, vcc_lo
	v_lshrrev_b32_e32 v15, 8, v3
	v_add_nc_u32_e32 v28, 0xfffffc10, v73
	v_lshrrev_b32_e32 v3, 16, v3
	v_cmp_ne_u32_e32 vcc_lo, v6, v16
	s_delay_alu instid0(VALU_DEP_4)
	v_and_or_b32 v2, 0xffe, v15, v2
	v_cvt_f64_f32_e32 v[15:16], v1
	v_and_or_b32 v1, 0x8000, v32, v31
	s_wait_alu 0xfffd
	v_cndmask_b32_e64 v6, 0, 1, vcc_lo
	v_cmp_gt_i32_e32 vcc_lo, 1, v28
	v_or_b32_e32 v30, 0x1000, v2
	v_lshl_or_b32 v33, v1, 16, v17
	s_delay_alu instid0(VALU_DEP_4) | instskip(SKIP_1) | instid1(VALU_DEP_4)
	v_or_b32_e32 v6, v11, v6
	v_lshl_or_b32 v11, v28, 12, v29
	v_lshrrev_b32_e32 v31, v9, v30
	s_wait_alu 0xfffd
	s_delay_alu instid0(VALU_DEP_1) | instskip(NEXT) | instid1(VALU_DEP_1)
	v_dual_cndmask_b32 v6, v11, v6 :: v_dual_lshlrev_b32 v1, v9, v31
	v_dual_mov_b32 v11, v14 :: v_dual_and_b32 v32, 7, v6
	v_lshrrev_b32_e32 v6, 2, v6
	s_delay_alu instid0(VALU_DEP_3)
	v_cmp_ne_u32_e64 s1, v1, v30
	v_add_nc_u32_e32 v30, 0xfffffc10, v18
	v_mul_f64_e32 v[12:13], s[26:27], v[12:13]
	v_cmp_lt_i32_e32 vcc_lo, 5, v32
	v_cmp_eq_u32_e64 s0, 3, v32
	s_wait_alu 0xf1ff
	v_cndmask_b32_e64 v9, 0, 1, s1
	v_lshl_or_b32 v14, v30, 12, v2
	global_load_b32 v1, v23, s[24:25] offset:5120
	ds_load_2addr_stride64_b32 v[17:18], v23 offset0:14 offset1:16
	s_or_b32 vcc_lo, s0, vcc_lo
	v_or_b32_e32 v9, v31, v9
	s_wait_alu 0xfffe
	v_add_co_ci_u32_e32 v6, vcc_lo, 0, v6, vcc_lo
	v_cmp_ne_u32_e32 vcc_lo, 0, v29
	v_lshrrev_b32_e32 v32, 16, v8
	s_wait_alu 0xfffd
	v_cndmask_b32_e64 v29, 0, 1, vcc_lo
	v_cmp_gt_i32_e32 vcc_lo, 1, v30
	s_wait_alu 0xfffd
	v_cndmask_b32_e32 v31, v14, v9, vcc_lo
	v_lshlrev_b64_e32 v[9:10], 2, v[10:11]
	v_cmp_gt_i32_e32 vcc_lo, 31, v28
	v_lshl_or_b32 v11, v29, 9, 0x7c00
	v_mul_f64_e32 v[14:15], s[26:27], v[15:16]
	v_and_b32_e32 v29, 7, v31
	v_lshrrev_b32_e32 v16, 16, v48
	s_wait_alu 0xfffd
	v_cndmask_b32_e32 v6, 0x7c00, v6, vcc_lo
	v_add_co_u32 v9, vcc_lo, v0, v9
	s_wait_alu 0xfffd
	v_add_co_ci_u32_e32 v10, vcc_lo, v4, v10, vcc_lo
	v_cmp_eq_u32_e32 vcc_lo, 0x40f, v28
	v_cmp_eq_u32_e64 s0, 3, v29
	global_store_b32 v[9:10], v33, off
	v_and_or_b32 v12, 0x1ff, v13, v12
	s_wait_alu 0xfffd
	v_cndmask_b32_e32 v6, v6, v11, vcc_lo
	v_cmp_lt_i32_e32 vcc_lo, 5, v29
	v_lshrrev_b32_e32 v11, 2, v31
	s_wait_dscnt 0x0
	v_lshrrev_b32_e32 v31, 16, v17
	v_lshrrev_b32_e32 v35, 8, v13
	v_bfe_u32 v36, v13, 20, 11
	s_or_b32 vcc_lo, s0, vcc_lo
	v_and_or_b32 v6, 0x8000, v16, v6
	s_wait_alu 0xfffe
	v_add_co_ci_u32_e32 v11, vcc_lo, 0, v11, vcc_lo
	v_cmp_ne_u32_e32 vcc_lo, 0, v2
	v_mul_f16_e32 v28, v31, v32
	s_wait_alu 0xfffd
	v_cndmask_b32_e64 v2, 0, 1, vcc_lo
	v_cmp_gt_i32_e32 vcc_lo, 31, v30
	s_delay_alu instid0(VALU_DEP_3) | instskip(NEXT) | instid1(VALU_DEP_3)
	v_fmac_f16_e32 v28, v17, v8
	v_lshl_or_b32 v2, v2, 9, 0x7c00
	s_wait_alu 0xfffd
	v_cndmask_b32_e32 v29, 0x7c00, v11, vcc_lo
	v_cmp_ne_u32_e32 vcc_lo, 0, v12
	v_cvt_f32_f16_e32 v28, v28
	v_mad_co_u64_u32 v[11:12], null, s20, v27, 0
	v_lshrrev_b32_e32 v16, 8, v15
	s_wait_alu 0xfffd
	v_cndmask_b32_e64 v34, 0, 1, vcc_lo
	v_cmp_eq_u32_e32 vcc_lo, 0x40f, v30
	s_delay_alu instid0(VALU_DEP_2)
	v_and_or_b32 v34, 0xffe, v35, v34
	v_sub_nc_u32_e32 v35, 0x3f1, v36
	s_wait_alu 0xfffd
	v_cndmask_b32_e32 v30, v29, v2, vcc_lo
	v_cvt_f64_f32_e32 v[28:29], v28
	v_mov_b32_e32 v2, v12
	v_or_b32_e32 v37, 0x1000, v34
	v_med3_i32 v35, v35, 0, 13
	v_and_or_b32 v12, 0x1ff, v15, v14
	v_and_or_b32 v10, 0x8000, v3, v30
	v_mad_co_u64_u32 v[2:3], null, s21, v27, v[2:3]
	s_delay_alu instid0(VALU_DEP_4) | instskip(SKIP_3) | instid1(VALU_DEP_4)
	v_lshrrev_b32_e32 v9, v35, v37
	v_mul_f16_e32 v3, v17, v32
	v_cmp_ne_u32_e32 vcc_lo, 0, v12
	v_bfe_u32 v17, v15, 20, 11
	v_lshlrev_b32_e32 v14, v35, v9
	s_delay_alu instid0(VALU_DEP_4) | instskip(SKIP_2) | instid1(VALU_DEP_3)
	v_fma_f16 v3, v8, v31, -v3
	s_wait_alu 0xfffd
	v_cndmask_b32_e64 v12, 0, 1, vcc_lo
	v_cmp_ne_u32_e32 vcc_lo, v14, v37
	v_add_nc_u32_e32 v14, 0xfffffc10, v36
	v_cvt_f32_f16_e32 v3, v3
	s_delay_alu instid0(VALU_DEP_4)
	v_and_or_b32 v16, 0xffe, v16, v12
	v_sub_nc_u32_e32 v12, 0x3f1, v17
	s_wait_alu 0xfffd
	v_cndmask_b32_e64 v8, 0, 1, vcc_lo
	v_lshl_or_b32 v30, v14, 12, v34
	v_cmp_gt_i32_e32 vcc_lo, 1, v14
	v_or_b32_e32 v31, 0x1000, v16
	v_med3_i32 v32, v12, 0, 13
	v_or_b32_e32 v27, v9, v8
	v_cvt_f64_f32_e32 v[8:9], v3
	v_dual_mov_b32 v12, v2 :: v_dual_and_b32 v3, 0xffff, v6
	s_delay_alu instid0(VALU_DEP_4) | instskip(SKIP_2) | instid1(VALU_DEP_3)
	v_lshrrev_b32_e32 v6, v32, v31
	s_wait_alu 0xfffd
	v_cndmask_b32_e32 v27, v30, v27, vcc_lo
	v_lshl_or_b32 v33, v10, 16, v3
	v_lshlrev_b64_e32 v[10:11], 2, v[11:12]
	v_lshlrev_b32_e32 v12, v32, v6
	s_delay_alu instid0(VALU_DEP_4)
	v_and_b32_e32 v30, 7, v27
	v_mul_f64_e32 v[2:3], s[26:27], v[28:29]
	v_lshrrev_b32_e32 v27, 2, v27
	v_add_nc_u32_e32 v29, 0xfffffc10, v17
	v_cmp_ne_u32_e64 s1, v12, v31
	v_cmp_lt_i32_e32 vcc_lo, 5, v30
	v_cmp_eq_u32_e64 s0, 3, v30
	s_clause 0x1
	global_load_b32 v28, v23, s[24:25] offset:5632
	global_load_b32 v30, v23, s[24:25] offset:6144
	s_wait_alu 0xf1ff
	v_cndmask_b32_e64 v12, 0, 1, s1
	v_lshrrev_b32_e32 v31, 16, v5
	s_or_b32 vcc_lo, s0, vcc_lo
	v_lshrrev_b32_e32 v32, 16, v13
	s_wait_alu 0xfffe
	v_add_co_ci_u32_e32 v17, vcc_lo, 0, v27, vcc_lo
	v_cmp_ne_u32_e32 vcc_lo, 0, v34
	v_or_b32_e32 v6, v6, v12
	v_lshl_or_b32 v12, v29, 12, v16
	s_wait_alu 0xfffd
	v_cndmask_b32_e64 v27, 0, 1, vcc_lo
	v_cmp_gt_i32_e32 vcc_lo, 31, v14
	s_delay_alu instid0(VALU_DEP_2)
	v_lshl_or_b32 v27, v27, 9, 0x7c00
	s_wait_alu 0xfffd
	v_cndmask_b32_e32 v17, 0x7c00, v17, vcc_lo
	v_cmp_gt_i32_e32 vcc_lo, 1, v29
	v_mul_f64_e32 v[8:9], s[26:27], v[8:9]
	s_wait_alu 0xfffd
	v_cndmask_b32_e32 v6, v12, v6, vcc_lo
	v_add_co_u32 v10, vcc_lo, v0, v10
	s_wait_alu 0xfffd
	v_add_co_ci_u32_e32 v11, vcc_lo, v4, v11, vcc_lo
	s_delay_alu instid0(VALU_DEP_3)
	v_and_b32_e32 v12, 7, v6
	v_cmp_eq_u32_e32 vcc_lo, 0x40f, v14
	v_lshrrev_b32_e32 v6, 2, v6
	v_and_or_b32 v2, 0x1ff, v3, v2
	v_lshrrev_b32_e32 v13, 8, v3
	v_cmp_eq_u32_e64 s0, 3, v12
	s_wait_alu 0xfffd
	v_cndmask_b32_e32 v14, v17, v27, vcc_lo
	v_lshrrev_b32_e32 v27, 16, v18
	v_cmp_lt_i32_e32 vcc_lo, 5, v12
	v_bfe_u32 v34, v3, 20, 11
	global_store_b32 v[10:11], v33, off
	v_and_or_b32 v14, 0x8000, v32, v14
	v_mul_f16_e32 v12, v27, v31
	s_or_b32 vcc_lo, s0, vcc_lo
	s_wait_alu 0xfffe
	v_add_co_ci_u32_e32 v6, vcc_lo, 0, v6, vcc_lo
	v_cmp_ne_u32_e32 vcc_lo, 0, v2
	v_fmac_f16_e32 v12, v18, v5
	s_wait_alu 0xfffd
	v_cndmask_b32_e64 v2, 0, 1, vcc_lo
	v_cmp_ne_u32_e32 vcc_lo, 0, v16
	s_delay_alu instid0(VALU_DEP_3) | instskip(NEXT) | instid1(VALU_DEP_3)
	v_cvt_f32_f16_e32 v12, v12
	v_and_or_b32 v35, 0xffe, v13, v2
	s_wait_alu 0xfffd
	v_cndmask_b32_e64 v16, 0, 1, vcc_lo
	v_cmp_gt_i32_e32 vcc_lo, 31, v29
	v_cvt_f64_f32_e32 v[12:13], v12
	v_sub_nc_u32_e32 v2, 0x3f1, v34
	v_or_b32_e32 v37, 0x1000, v35
	v_lshl_or_b32 v36, v16, 9, 0x7c00
	s_wait_alu 0xfffd
	v_cndmask_b32_e32 v6, 0x7c00, v6, vcc_lo
	v_cmp_eq_u32_e32 vcc_lo, 0x40f, v29
	v_med3_i32 v38, v2, 0, 13
	v_mad_co_u64_u32 v[16:17], null, s20, v26, 0
	s_wait_alu 0xfffd
	v_cndmask_b32_e32 v29, v6, v36, vcc_lo
	v_and_or_b32 v6, 0x1ff, v9, v8
	v_lshrrev_b32_e32 v10, v38, v37
	v_lshrrev_b32_e32 v8, 16, v15
	v_mul_f16_e32 v15, v18, v31
	v_mov_b32_e32 v2, v17
	v_cmp_ne_u32_e32 vcc_lo, 0, v6
	v_lshlrev_b32_e32 v11, v38, v10
	v_lshrrev_b32_e32 v17, 8, v9
	v_bfe_u32 v18, v9, 20, 11
	v_fma_f16 v5, v5, v27, -v15
	s_wait_alu 0xfffd
	v_cndmask_b32_e64 v6, 0, 1, vcc_lo
	v_cmp_ne_u32_e32 vcc_lo, v11, v37
	v_add_nc_u32_e32 v31, 0xfffffc10, v34
	v_and_or_b32 v8, 0x8000, v8, v29
	v_cvt_f32_f16_e32 v5, v5
	v_and_or_b32 v27, 0xffe, v17, v6
	v_sub_nc_u32_e32 v6, 0x3f1, v18
	s_wait_alu 0xfffd
	v_cndmask_b32_e64 v11, 0, 1, vcc_lo
	v_lshl_or_b32 v33, v31, 12, v35
	v_cmp_gt_i32_e32 vcc_lo, 1, v31
	v_or_b32_e32 v32, 0x1000, v27
	v_med3_i32 v17, v6, 0, 13
	v_or_b32_e32 v15, v10, v11
	v_mad_co_u64_u32 v[10:11], null, s21, v26, v[2:3]
	v_cvt_f64_f32_e32 v[5:6], v5
	s_delay_alu instid0(VALU_DEP_4)
	v_lshrrev_b32_e32 v2, v17, v32
	s_wait_alu 0xfffd
	v_cndmask_b32_e32 v15, v33, v15, vcc_lo
	v_mul_f64_e32 v[11:12], s[26:27], v[12:13]
	v_add_nc_u32_e32 v18, 0xfffffc10, v18
	v_and_b32_e32 v26, 0xffff, v14
	v_lshlrev_b32_e32 v13, v17, v2
	v_dual_mov_b32 v17, v10 :: v_dual_and_b32 v10, 7, v15
	v_lshrrev_b32_e32 v9, 16, v9
	s_delay_alu instid0(VALU_DEP_4) | instskip(NEXT) | instid1(VALU_DEP_4)
	v_lshl_or_b32 v26, v8, 16, v26
	v_cmp_ne_u32_e32 vcc_lo, v13, v32
	s_delay_alu instid0(VALU_DEP_4)
	v_cmp_eq_u32_e64 s0, 3, v10
	s_wait_alu 0xfffd
	v_cndmask_b32_e64 v13, 0, 1, vcc_lo
	v_cmp_lt_i32_e32 vcc_lo, 5, v10
	v_lshrrev_b32_e32 v10, 2, v15
	v_lshl_or_b32 v15, v18, 12, v27
	s_delay_alu instid0(VALU_DEP_4)
	v_or_b32_e32 v2, v2, v13
	s_or_b32 vcc_lo, s0, vcc_lo
	ds_load_2addr_stride64_b32 v[13:14], v23 offset0:18 offset1:20
	s_wait_alu 0xfffe
	v_add_co_ci_u32_e32 v10, vcc_lo, 0, v10, vcc_lo
	v_cmp_ne_u32_e32 vcc_lo, 0, v35
	s_wait_alu 0xfffd
	v_cndmask_b32_e64 v29, 0, 1, vcc_lo
	v_cmp_gt_i32_e32 vcc_lo, 1, v18
	s_wait_alu 0xfffd
	v_cndmask_b32_e32 v32, v15, v2, vcc_lo
	v_cmp_gt_i32_e32 vcc_lo, 31, v31
	v_lshlrev_b64_e32 v[15:16], 2, v[16:17]
	v_bfe_u32 v33, v12, 20, 11
	s_delay_alu instid0(VALU_DEP_4)
	v_and_b32_e32 v8, 7, v32
	s_wait_alu 0xfffd
	v_cndmask_b32_e32 v2, 0x7c00, v10, vcc_lo
	v_lshl_or_b32 v10, v29, 9, 0x7c00
	v_cmp_eq_u32_e32 vcc_lo, 0x40f, v31
	v_lshrrev_b32_e32 v29, 16, v3
	v_cmp_eq_u32_e64 s0, 3, v8
	v_lshrrev_b32_e32 v31, 16, v7
	s_wait_alu 0xfffd
	v_cndmask_b32_e32 v17, v2, v10, vcc_lo
	v_mul_f64_e32 v[2:3], s[26:27], v[5:6]
	v_cmp_lt_i32_e32 vcc_lo, 5, v8
	v_lshrrev_b32_e32 v5, 2, v32
	s_wait_dscnt 0x0
	v_lshrrev_b32_e32 v8, 16, v13
	v_and_or_b32 v6, 0x1ff, v12, v11
	v_lshrrev_b32_e32 v10, 8, v12
	s_or_b32 vcc_lo, s0, vcc_lo
	v_and_or_b32 v29, 0x8000, v29, v17
	s_wait_alu 0xfffe
	v_add_co_ci_u32_e32 v32, vcc_lo, 0, v5, vcc_lo
	v_mul_f16_e32 v5, v8, v31
	v_cmp_ne_u32_e32 vcc_lo, 0, v6
	v_lshrrev_b32_e32 v12, 16, v12
	s_delay_alu instid0(VALU_DEP_3)
	v_fmac_f16_e32 v5, v13, v7
	s_wait_alu 0xfffd
	v_cndmask_b32_e64 v6, 0, 1, vcc_lo
	v_cmp_ne_u32_e32 vcc_lo, 0, v27
	v_mul_f16_e32 v13, v13, v31
	v_cvt_f32_f16_e32 v11, v5
	s_delay_alu instid0(VALU_DEP_4)
	v_and_or_b32 v34, 0xffe, v10, v6
	v_sub_nc_u32_e32 v10, 0x3f1, v33
	s_wait_alu 0xfffd
	v_cndmask_b32_e64 v27, 0, 1, vcc_lo
	v_cmp_gt_i32_e32 vcc_lo, 31, v18
	v_mad_co_u64_u32 v[5:6], null, s20, v25, 0
	v_or_b32_e32 v35, 0x1000, v34
	v_med3_i32 v36, v10, 0, 13
	v_cvt_f64_f32_e32 v[10:11], v11
	s_wait_alu 0xfffd
	v_cndmask_b32_e32 v32, 0x7c00, v32, vcc_lo
	v_lshl_or_b32 v27, v27, 9, 0x7c00
	v_cmp_eq_u32_e32 vcc_lo, 0x40f, v18
	v_lshrrev_b32_e32 v37, v36, v35
	v_mad_co_u64_u32 v[17:18], null, s21, v25, v[6:7]
	v_fma_f16 v7, v7, v8, -v13
	s_wait_alu 0xfffd
	v_cndmask_b32_e32 v27, v32, v27, vcc_lo
	v_lshlrev_b32_e32 v32, v36, v37
	v_and_or_b32 v2, 0x1ff, v3, v2
	v_lshrrev_b32_e32 v8, 8, v3
	v_cvt_f32_f16_e32 v7, v7
	v_add_nc_u32_e32 v13, 0xfffffc10, v33
	v_cmp_ne_u32_e32 vcc_lo, v32, v35
	v_bfe_u32 v18, v3, 20, 11
	v_and_or_b32 v27, 0x8000, v9, v27
	s_delay_alu instid0(VALU_DEP_4)
	v_lshl_or_b32 v25, v13, 12, v34
	s_wait_alu 0xfffd
	v_cndmask_b32_e64 v6, 0, 1, vcc_lo
	v_cmp_ne_u32_e32 vcc_lo, 0, v2
	v_sub_nc_u32_e32 v31, 0x3f1, v18
	v_add_nc_u32_e32 v18, 0xfffffc10, v18
	s_delay_alu instid0(VALU_DEP_4) | instskip(SKIP_4) | instid1(VALU_DEP_3)
	v_or_b32_e32 v6, v37, v6
	s_wait_alu 0xfffd
	v_cndmask_b32_e64 v2, 0, 1, vcc_lo
	v_cmp_gt_i32_e32 vcc_lo, 1, v13
	v_med3_i32 v31, v31, 0, 13
	v_and_or_b32 v2, 0xffe, v8, v2
	v_cvt_f64_f32_e32 v[7:8], v7
	s_wait_alu 0xfffd
	v_cndmask_b32_e32 v25, v25, v6, vcc_lo
	v_dual_mov_b32 v6, v17 :: v_dual_and_b32 v17, 0xffff, v29
	v_or_b32_e32 v32, 0x1000, v2
	v_add_co_u32 v15, vcc_lo, v0, v15
	v_mul_f64_e32 v[9:10], s[26:27], v[10:11]
	v_and_b32_e32 v29, 7, v25
	s_delay_alu instid0(VALU_DEP_4)
	v_lshrrev_b32_e32 v33, v31, v32
	s_wait_alu 0xfffd
	v_add_co_ci_u32_e32 v16, vcc_lo, v4, v16, vcc_lo
	v_lshrrev_b32_e32 v25, 2, v25
	v_cmp_lt_i32_e32 vcc_lo, 5, v29
	v_cmp_eq_u32_e64 s0, 3, v29
	v_lshl_or_b32 v11, v27, 16, v17
	v_lshlrev_b32_e32 v17, v31, v33
	v_lshlrev_b64_e32 v[5:6], 2, v[5:6]
	v_lshl_or_b32 v29, v18, 12, v2
	s_or_b32 vcc_lo, s0, vcc_lo
	s_wait_alu 0xfffe
	v_add_co_ci_u32_e32 v25, vcc_lo, 0, v25, vcc_lo
	v_cmp_ne_u32_e64 s1, v17, v32
	v_cmp_ne_u32_e32 vcc_lo, 0, v34
	s_wait_alu 0xf1ff
	s_delay_alu instid0(VALU_DEP_2) | instskip(SKIP_3) | instid1(VALU_DEP_3)
	v_cndmask_b32_e64 v17, 0, 1, s1
	s_wait_alu 0xfffd
	v_cndmask_b32_e64 v27, 0, 1, vcc_lo
	v_cmp_gt_i32_e32 vcc_lo, 31, v13
	v_or_b32_e32 v17, v33, v17
	s_delay_alu instid0(VALU_DEP_3)
	v_lshl_or_b32 v27, v27, 9, 0x7c00
	s_wait_alu 0xfffd
	v_cndmask_b32_e32 v25, 0x7c00, v25, vcc_lo
	v_cmp_gt_i32_e32 vcc_lo, 1, v18
	v_mul_f64_e32 v[7:8], s[26:27], v[7:8]
	s_wait_alu 0xfffd
	v_cndmask_b32_e32 v17, v29, v17, vcc_lo
	v_add_co_u32 v5, vcc_lo, v0, v5
	s_wait_alu 0xfffd
	v_add_co_ci_u32_e32 v6, vcc_lo, v4, v6, vcc_lo
	v_cmp_eq_u32_e32 vcc_lo, 0x40f, v13
	s_clause 0x1
	global_store_b32 v[15:16], v26, off
	global_store_b32 v[5:6], v11, off
	v_and_or_b32 v5, 0x1ff, v10, v9
	v_lshrrev_b32_e32 v9, 16, v14
	s_wait_alu 0xfffd
	v_cndmask_b32_e32 v13, v25, v27, vcc_lo
	v_and_b32_e32 v25, 7, v17
	s_wait_loadcnt 0x2
	v_lshrrev_b32_e32 v11, 16, v1
	v_cmp_ne_u32_e64 s1, 0, v5
	v_lshrrev_b32_e32 v6, 2, v17
	v_and_or_b32 v15, 0x8000, v12, v13
	v_cmp_lt_i32_e32 vcc_lo, 5, v25
	v_cmp_eq_u32_e64 s0, 3, v25
	s_wait_alu 0xf1ff
	v_cndmask_b32_e64 v5, 0, 1, s1
	v_lshrrev_b32_e32 v12, 8, v10
	v_bfe_u32 v13, v10, 20, 11
	v_mul_f16_e32 v16, v9, v11
	s_or_b32 vcc_lo, s0, vcc_lo
	v_mul_f16_e32 v11, v14, v11
	s_wait_alu 0xfffe
	v_add_co_ci_u32_e32 v6, vcc_lo, 0, v6, vcc_lo
	v_and_or_b32 v17, 0xffe, v12, v5
	v_sub_nc_u32_e32 v5, 0x3f1, v13
	v_fmac_f16_e32 v16, v14, v1
	v_cmp_ne_u32_e32 vcc_lo, 0, v2
	v_fma_f16 v1, v1, v9, -v11
	v_or_b32_e32 v12, 0x1000, v17
	v_med3_i32 v25, v5, 0, 13
	v_cvt_f32_f16_e32 v5, v16
	s_wait_alu 0xfffd
	v_cndmask_b32_e64 v2, 0, 1, vcc_lo
	v_cmp_gt_i32_e32 vcc_lo, 31, v18
	v_and_or_b32 v7, 0x1ff, v8, v7
	v_lshrrev_b32_e32 v26, v25, v12
	v_bfe_u32 v29, v8, 20, 11
	v_lshl_or_b32 v2, v2, 9, 0x7c00
	s_wait_alu 0xfffd
	v_cndmask_b32_e32 v16, 0x7c00, v6, vcc_lo
	v_cvt_f64_f32_e32 v[5:6], v5
	v_cmp_eq_u32_e32 vcc_lo, 0x40f, v18
	v_lshlrev_b32_e32 v25, v25, v26
	v_lshrrev_b32_e32 v27, 8, v8
	v_sub_nc_u32_e32 v14, 0x3f1, v29
	v_cvt_f32_f16_e32 v11, v1
	s_wait_alu 0xfffd
	v_cndmask_b32_e32 v16, v16, v2, vcc_lo
	v_cmp_ne_u32_e32 vcc_lo, 0, v7
	v_lshrrev_b32_e32 v18, 16, v3
	v_mad_co_u64_u32 v[2:3], null, s20, v24, 0
	v_add_nc_u32_e32 v9, 0xfffffc10, v13
	s_wait_alu 0xfffd
	v_cndmask_b32_e64 v7, 0, 1, vcc_lo
	v_cmp_ne_u32_e32 vcc_lo, v25, v12
	v_med3_i32 v13, v14, 0, 13
	v_and_or_b32 v16, 0x8000, v18, v16
	v_lshl_or_b32 v18, v9, 12, v17
	v_and_or_b32 v7, 0xffe, v27, v7
	s_wait_alu 0xfffd
	v_cndmask_b32_e64 v12, 0, 1, vcc_lo
	v_mov_b32_e32 v1, v3
	v_cmp_gt_i32_e32 vcc_lo, 1, v9
	v_or_b32_e32 v25, 0x1000, v7
	s_delay_alu instid0(VALU_DEP_4) | instskip(SKIP_1) | instid1(VALU_DEP_3)
	v_or_b32_e32 v14, v26, v12
	v_cvt_f64_f32_e32 v[11:12], v11
	v_lshrrev_b32_e32 v26, v13, v25
	s_wait_alu 0xfffd
	s_delay_alu instid0(VALU_DEP_3) | instskip(NEXT) | instid1(VALU_DEP_2)
	v_cndmask_b32_e32 v18, v18, v14, vcc_lo
	v_lshlrev_b32_e32 v3, v13, v26
	v_mad_co_u64_u32 v[13:14], null, s21, v24, v[1:2]
	s_delay_alu instid0(VALU_DEP_3) | instskip(SKIP_1) | instid1(VALU_DEP_4)
	v_and_b32_e32 v14, 7, v18
	v_and_b32_e32 v1, 0xffff, v15
	v_cmp_ne_u32_e32 vcc_lo, v3, v25
	v_mul_f64_e32 v[5:6], s[26:27], v[5:6]
	v_add_nc_u32_e32 v24, 0xfffffc10, v29
	v_cmp_eq_u32_e64 s0, 3, v14
	v_mov_b32_e32 v3, v13
	s_wait_alu 0xfffd
	v_cndmask_b32_e64 v15, 0, 1, vcc_lo
	v_cmp_lt_i32_e32 vcc_lo, 5, v14
	v_lshl_or_b32 v16, v16, 16, v1
	v_cmp_gt_i32_e64 s1, 1, v24
	v_lshlrev_b64_e32 v[1:2], 2, v[2:3]
	v_lshrrev_b32_e32 v3, 2, v18
	v_or_b32_e32 v13, v26, v15
	v_lshl_or_b32 v15, v24, 12, v7
	s_or_b32 vcc_lo, s0, vcc_lo
	s_wait_alu 0xfffe
	v_add_co_ci_u32_e32 v3, vcc_lo, 0, v3, vcc_lo
	v_cmp_ne_u32_e32 vcc_lo, 0, v17
	v_cndmask_b32_e64 v15, v15, v13, s1
	ds_load_2addr_stride64_b32 v[13:14], v23 offset0:22 offset1:24
	v_cmp_eq_u32_e64 s1, 0x40f, v9
	s_wait_alu 0xfffd
	v_cndmask_b32_e64 v17, 0, 1, vcc_lo
	v_add_co_u32 v1, vcc_lo, v0, v1
	s_wait_alu 0xfffd
	v_add_co_ci_u32_e32 v2, vcc_lo, v4, v2, vcc_lo
	v_and_b32_e32 v18, 7, v15
	v_cmp_gt_i32_e32 vcc_lo, 31, v9
	v_mul_f64_e32 v[11:12], s[26:27], v[11:12]
	global_store_b32 v[1:2], v16, off
	v_lshrrev_b32_e32 v1, 2, v15
	v_cmp_eq_u32_e64 s0, 3, v18
	s_wait_alu 0xfffd
	v_cndmask_b32_e32 v3, 0x7c00, v3, vcc_lo
	v_cmp_lt_i32_e32 vcc_lo, 5, v18
	v_lshl_or_b32 v17, v17, 9, 0x7c00
	s_wait_loadcnt 0x1
	v_lshrrev_b32_e32 v16, 16, v28
	s_or_b32 vcc_lo, s0, vcc_lo
	s_wait_dscnt 0x0
	v_lshrrev_b32_e32 v15, 16, v13
	s_wait_alu 0xfffe
	v_add_co_ci_u32_e32 v1, vcc_lo, 0, v1, vcc_lo
	v_and_or_b32 v2, 0x1ff, v6, v5
	v_cmp_gt_i32_e32 vcc_lo, 31, v24
	v_cndmask_b32_e64 v3, v3, v17, s1
	v_lshrrev_b32_e32 v9, 8, v6
	v_bfe_u32 v18, v6, 20, 11
	v_lshrrev_b32_e32 v5, 16, v10
	s_wait_alu 0xfffd
	v_cndmask_b32_e32 v17, 0x7c00, v1, vcc_lo
	v_mul_f16_e32 v1, v15, v16
	v_cmp_ne_u32_e32 vcc_lo, 0, v2
	v_and_or_b32 v5, 0x8000, v5, v3
	s_delay_alu instid0(VALU_DEP_3)
	v_fmac_f16_e32 v1, v13, v28
	s_wait_alu 0xfffd
	v_cndmask_b32_e64 v2, 0, 1, vcc_lo
	v_cmp_ne_u32_e32 vcc_lo, 0, v7
	v_and_b32_e32 v5, 0xffff, v5
	v_cvt_f32_f16_e32 v10, v1
	s_delay_alu instid0(VALU_DEP_4)
	v_and_or_b32 v23, 0xffe, v9, v2
	s_wait_alu 0xfffd
	v_cndmask_b32_e64 v7, 0, 1, vcc_lo
	v_sub_nc_u32_e32 v9, 0x3f1, v18
	v_cmp_eq_u32_e32 vcc_lo, 0x40f, v24
	v_mad_co_u64_u32 v[1:2], null, s20, v22, 0
	s_delay_alu instid0(VALU_DEP_4)
	v_lshl_or_b32 v7, v7, 9, 0x7c00
	v_or_b32_e32 v25, 0x1000, v23
	v_med3_i32 v26, v9, 0, 13
	v_cvt_f64_f32_e32 v[9:10], v10
	v_lshrrev_b32_e32 v24, 16, v8
	s_wait_alu 0xfffd
	v_cndmask_b32_e32 v17, v17, v7, vcc_lo
	v_and_or_b32 v8, 0x1ff, v12, v11
	v_lshrrev_b32_e32 v7, v26, v25
	v_mad_co_u64_u32 v[2:3], null, s21, v22, v[2:3]
	v_mul_f16_e32 v11, v13, v16
	s_delay_alu instid0(VALU_DEP_4) | instskip(NEXT) | instid1(VALU_DEP_4)
	v_cmp_ne_u32_e32 vcc_lo, 0, v8
	v_lshlrev_b32_e32 v3, v26, v7
	v_lshrrev_b32_e32 v13, 8, v12
	v_bfe_u32 v16, v12, 20, 11
	v_fma_f16 v11, v28, v15, -v11
	s_wait_alu 0xfffd
	v_cndmask_b32_e64 v8, 0, 1, vcc_lo
	v_cmp_ne_u32_e32 vcc_lo, v3, v25
	v_add_nc_u32_e32 v15, 0xfffffc10, v18
	v_and_or_b32 v17, 0x8000, v24, v17
	v_lshlrev_b64_e32 v[1:2], 2, v[1:2]
	v_and_or_b32 v13, 0xffe, v13, v8
	s_wait_alu 0xfffd
	v_cndmask_b32_e64 v3, 0, 1, vcc_lo
	v_cvt_f32_f16_e32 v8, v11
	v_lshl_or_b32 v18, v15, 12, v23
	v_cmp_gt_i32_e32 vcc_lo, 1, v15
	v_sub_nc_u32_e32 v11, 0x3f1, v16
	v_or_b32_e32 v3, v7, v3
	v_cvt_f64_f32_e32 v[7:8], v8
	v_or_b32_e32 v22, 0x1000, v13
	v_lshl_or_b32 v25, v17, 16, v5
	v_med3_i32 v11, v11, 0, 13
	s_wait_alu 0xfffd
	v_cndmask_b32_e32 v3, v18, v3, vcc_lo
	v_lshrrev_b32_e32 v12, 16, v12
	s_delay_alu instid0(VALU_DEP_3) | instskip(NEXT) | instid1(VALU_DEP_3)
	v_lshrrev_b32_e32 v18, v11, v22
	v_and_b32_e32 v24, 7, v3
	v_lshrrev_b32_e32 v3, 2, v3
	v_mul_f64_e32 v[9:10], s[26:27], v[9:10]
	s_delay_alu instid0(VALU_DEP_3) | instskip(SKIP_3) | instid1(VALU_DEP_3)
	v_cmp_lt_i32_e32 vcc_lo, 5, v24
	v_cmp_eq_u32_e64 s0, 3, v24
	v_lshlrev_b32_e32 v5, v11, v18
	v_add_nc_u32_e32 v11, 0xfffffc10, v16
	s_or_b32 vcc_lo, s0, vcc_lo
	s_delay_alu instid0(VALU_DEP_2)
	v_cmp_ne_u32_e64 s1, v5, v22
	s_wait_alu 0xfffe
	v_add_co_ci_u32_e32 v3, vcc_lo, 0, v3, vcc_lo
	v_cmp_ne_u32_e32 vcc_lo, 0, v23
	v_lshl_or_b32 v17, v11, 12, v13
	s_wait_alu 0xf1ff
	v_cndmask_b32_e64 v5, 0, 1, s1
	s_wait_loadcnt 0x0
	v_lshrrev_b32_e32 v22, 16, v30
	s_wait_alu 0xfffd
	v_cndmask_b32_e64 v16, 0, 1, vcc_lo
	v_cmp_gt_i32_e32 vcc_lo, 31, v15
	v_or_b32_e32 v5, v18, v5
	v_lshrrev_b32_e32 v18, 16, v14
	s_delay_alu instid0(VALU_DEP_4)
	v_lshl_or_b32 v16, v16, 9, 0x7c00
	s_wait_alu 0xfffd
	v_cndmask_b32_e32 v3, 0x7c00, v3, vcc_lo
	v_cmp_gt_i32_e32 vcc_lo, 1, v11
	v_mul_f16_e32 v23, v18, v22
	s_wait_alu 0xfffd
	v_cndmask_b32_e32 v17, v17, v5, vcc_lo
	v_cmp_eq_u32_e32 vcc_lo, 0x40f, v15
	v_lshrrev_b32_e32 v15, 16, v6
	v_mul_f64_e32 v[5:6], s[26:27], v[7:8]
	v_fmac_f16_e32 v23, v14, v30
	v_and_b32_e32 v7, 7, v17
	s_wait_alu 0xfffd
	v_cndmask_b32_e32 v3, v3, v16, vcc_lo
	v_add_co_u32 v1, vcc_lo, v0, v1
	s_wait_alu 0xfffd
	v_add_co_ci_u32_e32 v2, vcc_lo, v4, v2, vcc_lo
	v_cmp_lt_i32_e32 vcc_lo, 5, v7
	v_cmp_eq_u32_e64 s0, 3, v7
	v_cvt_f32_f16_e32 v8, v23
	v_and_or_b32 v23, 0x8000, v15, v3
	v_lshrrev_b32_e32 v3, 2, v17
	v_and_or_b32 v9, 0x1ff, v10, v9
	s_or_b32 vcc_lo, s0, vcc_lo
	v_mul_f16_e32 v14, v14, v22
	v_lshrrev_b32_e32 v15, 8, v10
	s_wait_alu 0xfffe
	v_add_co_ci_u32_e32 v3, vcc_lo, 0, v3, vcc_lo
	v_cmp_ne_u32_e32 vcc_lo, 0, v9
	v_bfe_u32 v22, v10, 20, 11
	v_cvt_f64_f32_e32 v[7:8], v8
	v_fma_f16 v16, v30, v18, -v14
	s_wait_alu 0xfffd
	v_cndmask_b32_e64 v9, 0, 1, vcc_lo
	v_cmp_ne_u32_e32 vcc_lo, 0, v13
	v_mad_co_u64_u32 v[13:14], null, s20, v21, 0
	v_cvt_f32_f16_e32 v16, v16
	s_delay_alu instid0(VALU_DEP_4)
	v_and_or_b32 v9, 0xffe, v15, v9
	v_sub_nc_u32_e32 v15, 0x3f1, v22
	s_wait_alu 0xfffd
	v_cndmask_b32_e64 v17, 0, 1, vcc_lo
	v_cmp_gt_i32_e32 vcc_lo, 31, v11
	v_add_nc_u32_e32 v22, 0xfffffc10, v22
	v_or_b32_e32 v24, 0x1000, v9
	v_med3_i32 v26, v15, 0, 13
	v_lshl_or_b32 v17, v17, 9, 0x7c00
	s_wait_alu 0xfffd
	v_dual_cndmask_b32 v18, 0x7c00, v3 :: v_dual_mov_b32 v3, v14
	v_and_or_b32 v5, 0x1ff, v6, v5
	v_lshrrev_b32_e32 v14, v26, v24
	v_cmp_eq_u32_e32 vcc_lo, 0x40f, v11
	v_cvt_f64_f32_e32 v[15:16], v16
	s_wait_alu 0xfffd
	v_cndmask_b32_e32 v11, v18, v17, vcc_lo
	v_mad_co_u64_u32 v[17:18], null, s21, v21, v[3:4]
	v_lshlrev_b32_e32 v3, v26, v14
	v_cmp_ne_u32_e32 vcc_lo, 0, v5
	v_lshrrev_b32_e32 v18, 8, v6
	v_bfe_u32 v21, v6, 20, 11
	v_and_or_b32 v11, 0x8000, v12, v11
	v_and_b32_e32 v12, 0xffff, v23
	s_wait_alu 0xfffd
	v_cndmask_b32_e64 v5, 0, 1, vcc_lo
	v_cmp_ne_u32_e32 vcc_lo, v3, v24
	v_mul_f64_e32 v[7:8], s[26:27], v[7:8]
	s_delay_alu instid0(VALU_DEP_3)
	v_and_or_b32 v5, 0xffe, v18, v5
	s_wait_alu 0xfffd
	v_cndmask_b32_e64 v3, 0, 1, vcc_lo
	v_cmp_gt_i32_e32 vcc_lo, 1, v22
	v_sub_nc_u32_e32 v18, 0x3f1, v21
	v_lshl_or_b32 v26, v11, 16, v12
	v_or_b32_e32 v24, 0x1000, v5
	v_or_b32_e32 v3, v14, v3
	v_lshl_or_b32 v14, v22, 12, v9
	v_med3_i32 v18, v18, 0, 13
	s_wait_alu 0xfffd
	s_delay_alu instid0(VALU_DEP_2) | instskip(NEXT) | instid1(VALU_DEP_2)
	v_dual_cndmask_b32 v3, v14, v3 :: v_dual_mov_b32 v14, v17
	v_lshrrev_b32_e32 v17, v18, v24
	s_delay_alu instid0(VALU_DEP_2) | instskip(SKIP_1) | instid1(VALU_DEP_4)
	v_and_b32_e32 v23, 7, v3
	v_lshrrev_b32_e32 v3, 2, v3
	v_lshlrev_b64_e32 v[11:12], 2, v[13:14]
	v_mul_f64_e32 v[13:14], s[26:27], v[15:16]
	v_add_nc_u32_e32 v16, 0xfffffc10, v21
	v_cmp_lt_i32_e32 vcc_lo, 5, v23
	v_cmp_eq_u32_e64 s0, 3, v23
	s_delay_alu instid0(VALU_DEP_1)
	s_or_b32 vcc_lo, s0, vcc_lo
	s_wait_alu 0xfffe
	v_add_co_ci_u32_e32 v3, vcc_lo, 0, v3, vcc_lo
	v_cmp_ne_u32_e32 vcc_lo, 0, v9
	s_wait_alu 0xfffd
	v_cndmask_b32_e64 v9, 0, 1, vcc_lo
	v_cmp_gt_i32_e32 vcc_lo, 31, v22
	v_lshlrev_b32_e32 v18, v18, v17
	v_and_or_b32 v7, 0x1ff, v8, v7
	v_lshrrev_b32_e32 v21, 8, v8
	v_lshl_or_b32 v9, v9, 9, 0x7c00
	s_wait_alu 0xfffd
	v_cndmask_b32_e32 v3, 0x7c00, v3, vcc_lo
	v_cmp_ne_u32_e64 s1, v18, v24
	v_cmp_gt_i32_e32 vcc_lo, 1, v16
	s_wait_alu 0xf1ff
	s_delay_alu instid0(VALU_DEP_2) | instskip(NEXT) | instid1(VALU_DEP_1)
	v_cndmask_b32_e64 v15, 0, 1, s1
	v_or_b32_e32 v15, v17, v15
	v_lshl_or_b32 v17, v16, 12, v5
	v_and_or_b32 v13, 0x1ff, v14, v13
	s_wait_alu 0xfffd
	s_delay_alu instid0(VALU_DEP_2)
	v_cndmask_b32_e32 v15, v17, v15, vcc_lo
	v_cmp_eq_u32_e32 vcc_lo, 0x40f, v22
	v_lshrrev_b32_e32 v17, 16, v10
	v_bfe_u32 v22, v8, 20, 11
	s_wait_alu 0xfffd
	v_dual_cndmask_b32 v3, v3, v9 :: v_dual_and_b32 v18, 7, v15
	v_cmp_ne_u32_e32 vcc_lo, 0, v7
	s_delay_alu instid0(VALU_DEP_2) | instskip(NEXT) | instid1(VALU_DEP_3)
	v_cmp_eq_u32_e64 s0, 3, v18
	v_and_or_b32 v17, 0x8000, v17, v3
	s_wait_alu 0xfffd
	v_cndmask_b32_e64 v7, 0, 1, vcc_lo
	v_add_co_u32 v9, vcc_lo, v0, v11
	s_wait_alu 0xfffd
	v_add_co_ci_u32_e32 v10, vcc_lo, v4, v12, vcc_lo
	v_cmp_lt_i32_e32 vcc_lo, 5, v18
	v_lshrrev_b32_e32 v11, 2, v15
	v_and_or_b32 v7, 0xffe, v21, v7
	v_sub_nc_u32_e32 v3, 0x3f1, v22
	v_lshrrev_b32_e32 v18, 8, v14
	s_or_b32 vcc_lo, s0, vcc_lo
	v_bfe_u32 v21, v14, 20, 11
	s_wait_alu 0xfffe
	v_add_co_ci_u32_e32 v11, vcc_lo, 0, v11, vcc_lo
	v_or_b32_e32 v12, 0x1000, v7
	v_med3_i32 v3, v3, 0, 13
	v_cmp_ne_u32_e32 vcc_lo, 0, v13
	v_add_nc_u32_e32 v22, 0xfffffc10, v22
	v_lshrrev_b32_e32 v14, 16, v14
	v_and_b32_e32 v17, 0xffff, v17
	v_lshrrev_b32_e32 v15, v3, v12
	s_wait_alu 0xfffd
	v_cndmask_b32_e64 v13, 0, 1, vcc_lo
	v_cmp_ne_u32_e32 vcc_lo, 0, v5
	s_delay_alu instid0(VALU_DEP_3) | instskip(NEXT) | instid1(VALU_DEP_3)
	v_lshlrev_b32_e32 v3, v3, v15
	v_and_or_b32 v13, 0xffe, v18, v13
	s_wait_alu 0xfffd
	v_cndmask_b32_e64 v5, 0, 1, vcc_lo
	v_sub_nc_u32_e32 v18, 0x3f1, v21
	v_cmp_gt_i32_e32 vcc_lo, 31, v16
	v_add_nc_u32_e32 v21, 0xfffffc10, v21
	v_or_b32_e32 v24, 0x1000, v13
	v_lshl_or_b32 v5, v5, 9, 0x7c00
	v_med3_i32 v18, v18, 0, 13
	s_wait_alu 0xfffd
	v_cndmask_b32_e32 v23, 0x7c00, v11, vcc_lo
	v_cmp_ne_u32_e32 vcc_lo, v3, v12
	v_mad_co_u64_u32 v[11:12], null, s20, v20, 0
	v_lshrrev_b32_e32 v27, v18, v24
	v_cmp_gt_i32_e64 s1, 1, v21
	s_wait_alu 0xfffd
	v_cndmask_b32_e64 v3, 0, 1, vcc_lo
	v_cmp_eq_u32_e32 vcc_lo, 0x40f, v16
	s_delay_alu instid0(VALU_DEP_2)
	v_or_b32_e32 v3, v15, v3
	v_lshl_or_b32 v15, v22, 12, v7
	s_wait_alu 0xfffd
	v_dual_cndmask_b32 v16, v23, v5 :: v_dual_lshlrev_b32 v5, v18, v27
	v_cmp_gt_i32_e32 vcc_lo, 1, v22
	v_lshrrev_b32_e32 v18, 16, v6
	s_wait_alu 0xfffd
	v_cndmask_b32_e32 v15, v15, v3, vcc_lo
	v_cmp_ne_u32_e32 vcc_lo, v5, v24
	v_mov_b32_e32 v3, v12
	s_delay_alu instid0(VALU_DEP_3) | instskip(SKIP_2) | instid1(VALU_DEP_3)
	v_and_b32_e32 v23, 7, v15
	s_wait_alu 0xfffd
	v_cndmask_b32_e64 v12, 0, 1, vcc_lo
	v_mad_co_u64_u32 v[5:6], null, s21, v20, v[3:4]
	v_lshl_or_b32 v6, v21, 12, v13
	v_cmp_lt_i32_e32 vcc_lo, 5, v23
	s_delay_alu instid0(VALU_DEP_4)
	v_or_b32_e32 v3, v27, v12
	v_cmp_eq_u32_e64 s0, 3, v23
	v_lshrrev_b32_e32 v12, 2, v15
	v_and_or_b32 v15, 0x8000, v18, v16
	s_wait_alu 0xf1ff
	v_cndmask_b32_e64 v3, v6, v3, s1
	s_or_b32 vcc_lo, s0, vcc_lo
	v_cmp_ne_u32_e64 s1, 0, v7
	s_wait_alu 0xfffe
	v_add_co_ci_u32_e32 v6, vcc_lo, 0, v12, vcc_lo
	v_and_b32_e32 v16, 7, v3
	v_cmp_gt_i32_e32 vcc_lo, 31, v22
	v_lshrrev_b32_e32 v3, 2, v3
	v_mov_b32_e32 v12, v5
	s_wait_alu 0xf1ff
	v_cndmask_b32_e64 v7, 0, 1, s1
	v_cmp_eq_u32_e64 s0, 3, v16
	s_wait_alu 0xfffd
	v_cndmask_b32_e32 v18, 0x7c00, v6, vcc_lo
	v_cmp_lt_i32_e32 vcc_lo, 5, v16
	v_mad_co_u64_u32 v[5:6], null, s20, v19, 0
	v_lshl_or_b32 v20, v7, 9, 0x7c00
	s_or_b32 vcc_lo, s0, vcc_lo
	s_wait_alu 0xfffe
	v_add_co_ci_u32_e32 v16, vcc_lo, 0, v3, vcc_lo
	v_cmp_ne_u32_e32 vcc_lo, 0, v13
	s_delay_alu instid0(VALU_DEP_4) | instskip(SKIP_3) | instid1(VALU_DEP_3)
	v_mov_b32_e32 v3, v6
	s_wait_alu 0xfffd
	v_cndmask_b32_e64 v13, 0, 1, vcc_lo
	v_cmp_gt_i32_e32 vcc_lo, 31, v21
	v_mad_co_u64_u32 v[6:7], null, s21, v19, v[3:4]
	v_lshrrev_b32_e32 v7, 16, v8
	s_delay_alu instid0(VALU_DEP_4)
	v_lshl_or_b32 v13, v13, 9, 0x7c00
	s_wait_alu 0xfffd
	v_cndmask_b32_e32 v16, 0x7c00, v16, vcc_lo
	v_cmp_eq_u32_e32 vcc_lo, 0x40f, v22
	v_lshlrev_b64_e32 v[5:6], 2, v[5:6]
	s_wait_alu 0xfffd
	v_cndmask_b32_e32 v3, v18, v20, vcc_lo
	v_cmp_eq_u32_e32 vcc_lo, 0x40f, v21
	s_delay_alu instid0(VALU_DEP_2)
	v_and_or_b32 v3, 0x8000, v7, v3
	s_wait_alu 0xfffd
	v_cndmask_b32_e32 v13, v16, v13, vcc_lo
	v_lshlrev_b64_e32 v[7:8], 2, v[11:12]
	v_lshl_or_b32 v11, v15, 16, v17
	v_and_b32_e32 v3, 0xffff, v3
	s_delay_alu instid0(VALU_DEP_4) | instskip(NEXT) | instid1(VALU_DEP_4)
	v_and_or_b32 v12, 0x8000, v14, v13
	v_add_co_u32 v7, vcc_lo, v0, v7
	s_wait_alu 0xfffd
	v_add_co_ci_u32_e32 v8, vcc_lo, v4, v8, vcc_lo
	s_delay_alu instid0(VALU_DEP_3)
	v_lshl_or_b32 v12, v12, 16, v3
	v_add_co_u32 v3, vcc_lo, v0, v5
	s_wait_alu 0xfffd
	v_add_co_ci_u32_e32 v4, vcc_lo, v4, v6, vcc_lo
	s_clause 0x3
	global_store_b32 v[1:2], v25, off
	global_store_b32 v[9:10], v26, off
	;; [unrolled: 1-line block ×4, first 2 shown]
.LBB0_15:
	s_nop 0
	s_sendmsg sendmsg(MSG_DEALLOC_VGPRS)
	s_endpgm
	.section	.rodata,"a",@progbits
	.p2align	6, 0x0
	.amdhsa_kernel bluestein_single_fwd_len1664_dim1_half_op_CI_CI
		.amdhsa_group_segment_fixed_size 6656
		.amdhsa_private_segment_fixed_size 0
		.amdhsa_kernarg_size 104
		.amdhsa_user_sgpr_count 2
		.amdhsa_user_sgpr_dispatch_ptr 0
		.amdhsa_user_sgpr_queue_ptr 0
		.amdhsa_user_sgpr_kernarg_segment_ptr 1
		.amdhsa_user_sgpr_dispatch_id 0
		.amdhsa_user_sgpr_private_segment_size 0
		.amdhsa_wavefront_size32 1
		.amdhsa_uses_dynamic_stack 0
		.amdhsa_enable_private_segment 0
		.amdhsa_system_sgpr_workgroup_id_x 1
		.amdhsa_system_sgpr_workgroup_id_y 0
		.amdhsa_system_sgpr_workgroup_id_z 0
		.amdhsa_system_sgpr_workgroup_info 0
		.amdhsa_system_vgpr_workitem_id 0
		.amdhsa_next_free_vgpr 189
		.amdhsa_next_free_sgpr 28
		.amdhsa_reserve_vcc 1
		.amdhsa_float_round_mode_32 0
		.amdhsa_float_round_mode_16_64 0
		.amdhsa_float_denorm_mode_32 3
		.amdhsa_float_denorm_mode_16_64 3
		.amdhsa_fp16_overflow 0
		.amdhsa_workgroup_processor_mode 1
		.amdhsa_memory_ordered 1
		.amdhsa_forward_progress 0
		.amdhsa_round_robin_scheduling 0
		.amdhsa_exception_fp_ieee_invalid_op 0
		.amdhsa_exception_fp_denorm_src 0
		.amdhsa_exception_fp_ieee_div_zero 0
		.amdhsa_exception_fp_ieee_overflow 0
		.amdhsa_exception_fp_ieee_underflow 0
		.amdhsa_exception_fp_ieee_inexact 0
		.amdhsa_exception_int_div_zero 0
	.end_amdhsa_kernel
	.text
.Lfunc_end0:
	.size	bluestein_single_fwd_len1664_dim1_half_op_CI_CI, .Lfunc_end0-bluestein_single_fwd_len1664_dim1_half_op_CI_CI
                                        ; -- End function
	.section	.AMDGPU.csdata,"",@progbits
; Kernel info:
; codeLenInByte = 25160
; NumSgprs: 30
; NumVgprs: 189
; ScratchSize: 0
; MemoryBound: 0
; FloatMode: 240
; IeeeMode: 1
; LDSByteSize: 6656 bytes/workgroup (compile time only)
; SGPRBlocks: 3
; VGPRBlocks: 23
; NumSGPRsForWavesPerEU: 30
; NumVGPRsForWavesPerEU: 189
; Occupancy: 8
; WaveLimiterHint : 1
; COMPUTE_PGM_RSRC2:SCRATCH_EN: 0
; COMPUTE_PGM_RSRC2:USER_SGPR: 2
; COMPUTE_PGM_RSRC2:TRAP_HANDLER: 0
; COMPUTE_PGM_RSRC2:TGID_X_EN: 1
; COMPUTE_PGM_RSRC2:TGID_Y_EN: 0
; COMPUTE_PGM_RSRC2:TGID_Z_EN: 0
; COMPUTE_PGM_RSRC2:TIDIG_COMP_CNT: 0
	.text
	.p2alignl 7, 3214868480
	.fill 96, 4, 3214868480
	.type	__hip_cuid_8ca3b411d0828a56,@object ; @__hip_cuid_8ca3b411d0828a56
	.section	.bss,"aw",@nobits
	.globl	__hip_cuid_8ca3b411d0828a56
__hip_cuid_8ca3b411d0828a56:
	.byte	0                               ; 0x0
	.size	__hip_cuid_8ca3b411d0828a56, 1

	.ident	"AMD clang version 19.0.0git (https://github.com/RadeonOpenCompute/llvm-project roc-6.4.0 25133 c7fe45cf4b819c5991fe208aaa96edf142730f1d)"
	.section	".note.GNU-stack","",@progbits
	.addrsig
	.addrsig_sym __hip_cuid_8ca3b411d0828a56
	.amdgpu_metadata
---
amdhsa.kernels:
  - .args:
      - .actual_access:  read_only
        .address_space:  global
        .offset:         0
        .size:           8
        .value_kind:     global_buffer
      - .actual_access:  read_only
        .address_space:  global
        .offset:         8
        .size:           8
        .value_kind:     global_buffer
      - .actual_access:  read_only
        .address_space:  global
        .offset:         16
        .size:           8
        .value_kind:     global_buffer
      - .actual_access:  read_only
        .address_space:  global
        .offset:         24
        .size:           8
        .value_kind:     global_buffer
      - .actual_access:  read_only
        .address_space:  global
        .offset:         32
        .size:           8
        .value_kind:     global_buffer
      - .offset:         40
        .size:           8
        .value_kind:     by_value
      - .address_space:  global
        .offset:         48
        .size:           8
        .value_kind:     global_buffer
      - .address_space:  global
        .offset:         56
        .size:           8
        .value_kind:     global_buffer
      - .address_space:  global
        .offset:         64
        .size:           8
        .value_kind:     global_buffer
      - .address_space:  global
        .offset:         72
        .size:           8
        .value_kind:     global_buffer
      - .offset:         80
        .size:           4
        .value_kind:     by_value
      - .address_space:  global
        .offset:         88
        .size:           8
        .value_kind:     global_buffer
      - .address_space:  global
        .offset:         96
        .size:           8
        .value_kind:     global_buffer
    .group_segment_fixed_size: 6656
    .kernarg_segment_align: 8
    .kernarg_segment_size: 104
    .language:       OpenCL C
    .language_version:
      - 2
      - 0
    .max_flat_workgroup_size: 208
    .name:           bluestein_single_fwd_len1664_dim1_half_op_CI_CI
    .private_segment_fixed_size: 0
    .sgpr_count:     30
    .sgpr_spill_count: 0
    .symbol:         bluestein_single_fwd_len1664_dim1_half_op_CI_CI.kd
    .uniform_work_group_size: 1
    .uses_dynamic_stack: false
    .vgpr_count:     189
    .vgpr_spill_count: 0
    .wavefront_size: 32
    .workgroup_processor_mode: 1
amdhsa.target:   amdgcn-amd-amdhsa--gfx1201
amdhsa.version:
  - 1
  - 2
...

	.end_amdgpu_metadata
